;; amdgpu-corpus repo=ROCm/rocFFT kind=compiled arch=gfx1030 opt=O3
	.text
	.amdgcn_target "amdgcn-amd-amdhsa--gfx1030"
	.amdhsa_code_object_version 6
	.protected	bluestein_single_back_len10000_dim1_half_op_CI_CI ; -- Begin function bluestein_single_back_len10000_dim1_half_op_CI_CI
	.globl	bluestein_single_back_len10000_dim1_half_op_CI_CI
	.p2align	8
	.type	bluestein_single_back_len10000_dim1_half_op_CI_CI,@function
bluestein_single_back_len10000_dim1_half_op_CI_CI: ; @bluestein_single_back_len10000_dim1_half_op_CI_CI
; %bb.0:
	s_load_dwordx4 s[12:15], s[4:5], 0x28
	v_mul_u32_u24_e32 v1, 0x20d, v0
	v_mov_b32_e32 v53, 0
	s_mov_b32 s0, exec_lo
	v_lshrrev_b32_e32 v1, 18, v1
	v_add_nc_u32_e32 v52, s6, v1
	s_waitcnt lgkmcnt(0)
	v_cmpx_gt_u64_e64 s[12:13], v[52:53]
	s_cbranch_execz .LBB0_2
; %bb.1:
	s_clause 0x1
	s_load_dwordx4 s[8:11], s[4:5], 0x18
	s_load_dwordx4 s[0:3], s[4:5], 0x0
	v_mul_lo_u16 v1, 0x1f4, v1
	v_mov_b32_e32 v24, 2
	s_load_dwordx2 s[4:5], s[4:5], 0x38
	v_sub_nc_u16 v20, v0, v1
	v_and_b32_e32 v71, 0xffff, v20
	v_lshlrev_b32_e32 v67, 2, v71
	v_add_co_u32 v22, null, 0x1f4, v71
	s_waitcnt lgkmcnt(0)
	s_load_dwordx4 s[16:19], s[8:9], 0x0
	s_clause 0x1
	global_load_dword v73, v67, s[0:1]
	global_load_dword v68, v67, s[0:1] offset:2000
	v_add_co_u32 v75, s6, s0, v67
	v_add_co_ci_u32_e64 v76, null, s1, 0, s6
	v_lshlrev_b32_e32 v79, 4, v22
	v_add_co_u32 v0, vcc_lo, 0x2000, v75
	v_add_co_ci_u32_e32 v1, vcc_lo, 0, v76, vcc_lo
	v_add_co_u32 v2, vcc_lo, 0x4800, v75
	v_add_co_ci_u32_e32 v3, vcc_lo, 0, v76, vcc_lo
	v_add_co_u32 v4, vcc_lo, 0x7000, v75
	v_add_co_ci_u32_e32 v5, vcc_lo, 0, v76, vcc_lo
	s_waitcnt lgkmcnt(0)
	v_mad_u64_u32 v[6:7], null, s18, v52, 0
	v_add_co_u32 v8, vcc_lo, 0x2800, v75
	v_mad_u64_u32 v[10:11], null, s16, v71, 0
	v_add_co_ci_u32_e32 v9, vcc_lo, 0, v76, vcc_lo
	v_add_co_u32 v12, vcc_lo, 0x5000, v75
	v_mad_u64_u32 v[16:17], null, s19, v52, v[7:8]
	global_load_dword v74, v[0:1], off offset:1808
	v_mad_u64_u32 v[0:1], null, s17, v71, v[11:12]
	v_add_co_ci_u32_e32 v13, vcc_lo, 0, v76, vcc_lo
	v_add_co_u32 v14, vcc_lo, 0x7800, v75
	v_mov_b32_e32 v7, v16
	v_add_co_ci_u32_e32 v15, vcc_lo, 0, v76, vcc_lo
	v_mov_b32_e32 v11, v0
	v_add_co_u32 v17, vcc_lo, 0x800, v75
	v_lshlrev_b64 v[0:1], 2, v[6:7]
	v_add_co_ci_u32_e32 v18, vcc_lo, 0, v76, vcc_lo
	s_clause 0x2
	global_load_dword v72, v[2:3], off offset:1568
	global_load_dword v70, v[4:5], off offset:1328
	;; [unrolled: 1-line block ×3, first 2 shown]
	v_lshlrev_b64 v[2:3], 2, v[10:11]
	s_mul_i32 s1, s17, 0x2710
	v_add_co_u32 v0, vcc_lo, s14, v0
	v_add_co_ci_u32_e32 v1, vcc_lo, s15, v1, vcc_lo
	s_mul_hi_u32 s6, s16, 0x2710
	v_add_co_u32 v0, vcc_lo, v0, v2
	v_add_co_ci_u32_e32 v1, vcc_lo, v1, v3, vcc_lo
	s_mul_i32 s0, s16, 0x2710
	s_add_i32 s1, s6, s1
	v_add_co_u32 v2, vcc_lo, v0, s0
	v_add_co_ci_u32_e32 v3, vcc_lo, s1, v1, vcc_lo
	s_mul_hi_u32 s8, s16, 0xffff92a0
	v_add_co_u32 v4, vcc_lo, v2, s0
	v_add_co_ci_u32_e32 v5, vcc_lo, s1, v3, vcc_lo
	s_mul_i32 s7, s17, 0xffff92a0
	v_add_co_u32 v6, vcc_lo, v4, s0
	v_add_co_ci_u32_e32 v7, vcc_lo, s1, v5, vcc_lo
	s_mul_i32 s6, s16, 0xffff92a0
	s_sub_i32 s8, s8, s16
	s_clause 0x1
	global_load_dword v66, v[12:13], off offset:1520
	global_load_dword v65, v[14:15], off offset:1280
	s_add_i32 s8, s8, s7
	v_add_co_u32 v8, vcc_lo, v6, s6
	s_clause 0x3
	global_load_dword v10, v[0:1], off
	global_load_dword v11, v[2:3], off
	;; [unrolled: 1-line block ×4, first 2 shown]
	v_add_co_ci_u32_e32 v9, vcc_lo, s8, v7, vcc_lo
	v_add_co_u32 v0, vcc_lo, v8, s0
	v_lshlrev_b32_e32 v77, 4, v71
	v_add_co_ci_u32_e32 v1, vcc_lo, s1, v9, vcc_lo
	v_add_co_u32 v2, vcc_lo, v0, s0
	v_add_co_ci_u32_e32 v3, vcc_lo, s1, v1, vcc_lo
	v_add_co_u32 v4, vcc_lo, v2, s0
	;; [unrolled: 2-line block ×3, first 2 shown]
	v_add_co_ci_u32_e32 v7, vcc_lo, s8, v5, vcc_lo
	global_load_dword v14, v[8:9], off
	global_load_dword v15, v[0:1], off
	;; [unrolled: 1-line block ×5, first 2 shown]
	v_add_co_u32 v0, vcc_lo, v6, s0
	v_add_co_ci_u32_e32 v1, vcc_lo, s1, v7, vcc_lo
	v_add_co_u32 v2, vcc_lo, 0x3000, v75
	v_add_co_ci_u32_e32 v3, vcc_lo, 0, v76, vcc_lo
	;; [unrolled: 2-line block ×4, first 2 shown]
	global_load_dword v64, v[17:18], off offset:1952
	global_load_dword v17, v[0:1], off
	global_load_dword v63, v[2:3], off offset:1712
	global_load_dword v18, v[4:5], off
	global_load_dword v62, v[6:7], off offset:1472
	v_add_co_u32 v0, vcc_lo, v4, s0
	v_add_co_ci_u32_e32 v1, vcc_lo, s1, v5, vcc_lo
	v_add_co_u32 v2, vcc_lo, 0x8000, v75
	v_add_co_ci_u32_e32 v3, vcc_lo, 0, v76, vcc_lo
	;; [unrolled: 2-line block ×5, first 2 shown]
	global_load_dword v23, v[0:1], off
	global_load_dword v61, v[2:3], off offset:1232
	global_load_dword v25, v[4:5], off
	global_load_dword v60, v[6:7], off offset:1904
	global_load_dword v26, v[8:9], off
	v_add_co_u32 v0, vcc_lo, 0x3800, v75
	v_add_co_ci_u32_e32 v1, vcc_lo, 0, v76, vcc_lo
	v_add_co_u32 v2, vcc_lo, v8, s0
	v_add_co_ci_u32_e32 v3, vcc_lo, s1, v9, vcc_lo
	;; [unrolled: 2-line block ×5, first 2 shown]
	global_load_dword v59, v[0:1], off offset:1664
	global_load_dword v27, v[2:3], off
	global_load_dword v58, v[4:5], off offset:1424
	global_load_dword v28, v[6:7], off
	global_load_dword v57, v[8:9], off offset:1184
	v_add_co_u32 v0, vcc_lo, v6, s6
	v_add_co_ci_u32_e32 v1, vcc_lo, s8, v7, vcc_lo
	v_add_co_u32 v2, vcc_lo, 0x1800, v75
	v_add_co_ci_u32_e32 v3, vcc_lo, 0, v76, vcc_lo
	;; [unrolled: 2-line block ×5, first 2 shown]
	global_load_dword v29, v[0:1], off
	global_load_dword v56, v[2:3], off offset:1856
	global_load_dword v30, v[4:5], off
	global_load_dword v55, v[6:7], off offset:1616
	global_load_dword v6, v[8:9], off
	v_add_co_u32 v0, vcc_lo, 0x6800, v75
	v_add_co_ci_u32_e32 v1, vcc_lo, 0, v76, vcc_lo
	v_add_co_u32 v2, vcc_lo, v8, s0
	v_add_co_ci_u32_e32 v3, vcc_lo, s1, v9, vcc_lo
	v_add_co_u32 v4, vcc_lo, 0x9000, v75
	v_add_co_ci_u32_e32 v5, vcc_lo, 0, v76, vcc_lo
	global_load_dword v2, v[2:3], off
	s_clause 0x1
	global_load_dword v54, v[0:1], off offset:1376
	global_load_dword v53, v[4:5], off offset:1136
	s_load_dwordx4 s[8:11], s[10:11], 0x0
	v_lshlrev_b16 v0, 2, v20
	v_add_co_u32 v5, null, 0x3e8, v71
	v_add_co_u32 v4, null, 0x5dc, v71
	v_lshlrev_b32_sdwa v78, v24, v0 dst_sel:DWORD dst_unused:UNUSED_PAD src0_sel:DWORD src1_sel:WORD_0
	v_lshlrev_b32_e32 v80, 4, v5
	v_lshlrev_b32_e32 v81, 4, v4
	s_waitcnt lgkmcnt(0)
	s_mul_i32 s7, s8, 0xffff92a0
	s_waitcnt vmcnt(31)
	v_lshrrev_b32_e32 v1, 16, v10
	v_mul_f16_sdwa v3, v73, v10 dst_sel:DWORD dst_unused:UNUSED_PAD src0_sel:WORD_1 src1_sel:DWORD
	s_waitcnt vmcnt(30)
	v_lshrrev_b32_e32 v8, 16, v11
	s_waitcnt vmcnt(29)
	v_mul_f16_sdwa v31, v72, v12 dst_sel:DWORD dst_unused:UNUSED_PAD src0_sel:WORD_1 src1_sel:DWORD
	v_mul_f16_sdwa v7, v73, v1 dst_sel:DWORD dst_unused:UNUSED_PAD src0_sel:WORD_1 src1_sel:DWORD
	v_fma_f16 v1, v73, v1, -v3
	v_mul_f16_sdwa v3, v74, v11 dst_sel:DWORD dst_unused:UNUSED_PAD src0_sel:WORD_1 src1_sel:DWORD
	v_mul_f16_sdwa v9, v74, v8 dst_sel:DWORD dst_unused:UNUSED_PAD src0_sel:WORD_1 src1_sel:DWORD
	v_fmac_f16_e32 v7, v73, v10
	v_lshrrev_b32_e32 v10, 16, v12
	v_fma_f16 v3, v74, v8, -v3
	v_fmac_f16_e32 v9, v74, v11
	s_waitcnt vmcnt(28)
	v_mul_f16_sdwa v11, v70, v13 dst_sel:DWORD dst_unused:UNUSED_PAD src0_sel:WORD_1 src1_sel:DWORD
	v_pack_b32_f16 v1, v7, v1
	v_mul_f16_sdwa v7, v72, v10 dst_sel:DWORD dst_unused:UNUSED_PAD src0_sel:WORD_1 src1_sel:DWORD
	v_fma_f16 v8, v72, v10, -v31
	v_lshrrev_b32_e32 v10, 16, v13
	ds_write_b32 v67, v1
	v_pack_b32_f16 v1, v9, v3
	v_fmac_f16_e32 v7, v72, v12
	v_mul_f16_sdwa v3, v70, v10 dst_sel:DWORD dst_unused:UNUSED_PAD src0_sel:WORD_1 src1_sel:DWORD
	v_fma_f16 v9, v70, v10, -v11
	s_waitcnt vmcnt(27)
	v_lshrrev_b32_e32 v10, 16, v14
	v_mul_f16_sdwa v11, v68, v14 dst_sel:DWORD dst_unused:UNUSED_PAD src0_sel:WORD_1 src1_sel:DWORD
	ds_write_b32 v67, v1 offset:10000
	v_pack_b32_f16 v1, v7, v8
	v_fmac_f16_e32 v3, v70, v13
	v_mul_f16_sdwa v7, v68, v10 dst_sel:DWORD dst_unused:UNUSED_PAD src0_sel:WORD_1 src1_sel:DWORD
	v_fma_f16 v8, v68, v10, -v11
	s_waitcnt vmcnt(26)
	v_lshrrev_b32_e32 v10, 16, v15
	v_mul_f16_sdwa v11, v69, v15 dst_sel:DWORD dst_unused:UNUSED_PAD src0_sel:WORD_1 src1_sel:DWORD
	ds_write_b32 v67, v1 offset:20000
	;; [unrolled: 8-line block ×4, first 2 shown]
	v_pack_b32_f16 v1, v3, v9
	v_fmac_f16_e32 v7, v66, v16
	v_mul_f16_sdwa v3, v65, v10 dst_sel:DWORD dst_unused:UNUSED_PAD src0_sel:WORD_1 src1_sel:DWORD
	v_fma_f16 v9, v65, v10, -v11
	s_waitcnt vmcnt(23)
	v_lshrrev_b32_e32 v10, 16, v21
	s_waitcnt vmcnt(22)
	v_mul_f16_sdwa v11, v64, v21 dst_sel:DWORD dst_unused:UNUSED_PAD src0_sel:WORD_1 src1_sel:DWORD
	ds_write_b32 v67, v1 offset:12000
	v_pack_b32_f16 v1, v7, v8
	v_fmac_f16_e32 v3, v65, v19
	v_mul_f16_sdwa v7, v64, v10 dst_sel:DWORD dst_unused:UNUSED_PAD src0_sel:WORD_1 src1_sel:DWORD
	v_fma_f16 v8, v64, v10, -v11
	s_waitcnt vmcnt(21)
	v_lshrrev_b32_e32 v10, 16, v17
	s_waitcnt vmcnt(20)
	v_mul_f16_sdwa v11, v63, v17 dst_sel:DWORD dst_unused:UNUSED_PAD src0_sel:WORD_1 src1_sel:DWORD
	ds_write_b32 v67, v1 offset:22000
	;; [unrolled: 9-line block ×10, first 2 shown]
	s_waitcnt vmcnt(3)
	v_lshrrev_b32_e32 v1, 16, v6
	s_waitcnt vmcnt(2)
	v_lshrrev_b32_e32 v13, 16, v2
	v_mul_f16_sdwa v12, v55, v10 dst_sel:DWORD dst_unused:UNUSED_PAD src0_sel:WORD_1 src1_sel:DWORD
	v_fma_f16 v10, v55, v10, -v11
	s_waitcnt vmcnt(1)
	v_mul_f16_sdwa v11, v54, v6 dst_sel:DWORD dst_unused:UNUSED_PAD src0_sel:WORD_1 src1_sel:DWORD
	v_mul_f16_sdwa v14, v54, v1 dst_sel:DWORD dst_unused:UNUSED_PAD src0_sel:WORD_1 src1_sel:DWORD
	s_waitcnt vmcnt(0)
	v_mul_f16_sdwa v15, v53, v2 dst_sel:DWORD dst_unused:UNUSED_PAD src0_sel:WORD_1 src1_sel:DWORD
	v_mul_f16_sdwa v16, v53, v13 dst_sel:DWORD dst_unused:UNUSED_PAD src0_sel:WORD_1 src1_sel:DWORD
	v_fmac_f16_e32 v7, v56, v29
	v_fmac_f16_e32 v12, v55, v30
	v_fma_f16 v1, v54, v1, -v11
	v_fmac_f16_e32 v14, v54, v6
	v_fma_f16 v6, v53, v13, -v15
	v_fmac_f16_e32 v16, v53, v2
	v_pack_b32_f16 v2, v3, v9
	v_pack_b32_f16 v3, v7, v8
	;; [unrolled: 1-line block ×5, first 2 shown]
	ds_write_b32 v67, v2 offset:36000
	ds_write_b32 v67, v3 offset:8000
	ds_write_b32 v67, v7 offset:18000
	ds_write_b32 v67, v1 offset:28000
	ds_write_b32 v67, v6 offset:38000
	s_waitcnt lgkmcnt(0)
	s_barrier
	buffer_gl0_inv
	ds_read_b32 v1, v67 offset:32000
	ds_read_b32 v2, v67 offset:22000
	;; [unrolled: 1-line block ×16, first 2 shown]
	ds_read_b32 v21, v67
	ds_read_b32 v23, v67 offset:20000
	ds_read_b32 v25, v67 offset:10000
	;; [unrolled: 1-line block ×3, first 2 shown]
	v_and_b32_e32 v6, 3, v71
	s_waitcnt lgkmcnt(0)
	s_barrier
	v_pk_add_f16 v0, v7, v2 neg_lo:[0,1] neg_hi:[0,1]
	v_pk_add_f16 v3, v8, v3 neg_lo:[0,1] neg_hi:[0,1]
	v_lshlrev_b32_e32 v29, 4, v6
	buffer_gl0_inv
	v_pk_add_f16 v1, v11, v1 neg_lo:[0,1] neg_hi:[0,1]
	v_pk_fma_f16 v7, v7, 2.0, v0 op_sel_hi:[1,0,1] neg_lo:[0,0,1] neg_hi:[0,0,1]
	v_pk_fma_f16 v8, v8, 2.0, v3 op_sel_hi:[1,0,1] neg_lo:[0,0,1] neg_hi:[0,0,1]
	v_lshrrev_b32_e32 v31, 16, v0
	v_pk_add_f16 v15, v9, v15 neg_lo:[0,1] neg_hi:[0,1]
	v_pk_add_f16 v16, v10, v16 neg_lo:[0,1] neg_hi:[0,1]
	;; [unrolled: 1-line block ×5, first 2 shown]
	v_pk_fma_f16 v2, v11, 2.0, v1 op_sel_hi:[1,0,1] neg_lo:[0,0,1] neg_hi:[0,0,1]
	v_pk_add_f16 v23, v21, v23 neg_lo:[0,1] neg_hi:[0,1]
	v_pk_fma_f16 v11, v12, 2.0, v28 op_sel_hi:[1,0,1] neg_lo:[0,0,1] neg_hi:[0,0,1]
	v_pk_add_f16 v26, v25, v26 neg_lo:[0,1] neg_hi:[0,1]
	v_pk_fma_f16 v10, v10, 2.0, v16 op_sel_hi:[1,0,1] neg_lo:[0,0,1] neg_hi:[0,0,1]
	v_pk_fma_f16 v14, v14, 2.0, v19 op_sel_hi:[1,0,1] neg_lo:[0,0,1] neg_hi:[0,0,1]
	v_lshrrev_b32_e32 v34, 16, v23
	v_pk_fma_f16 v21, v21, 2.0, v23 op_sel_hi:[1,0,1] neg_lo:[0,0,1] neg_hi:[0,0,1]
	v_pk_fma_f16 v25, v25, 2.0, v26 op_sel_hi:[1,0,1] neg_lo:[0,0,1] neg_hi:[0,0,1]
	v_lshrrev_b32_e32 v32, 16, v3
	v_lshrrev_b32_e32 v37, 16, v15
	v_pk_fma_f16 v33, v9, 2.0, v15 op_sel_hi:[1,0,1] neg_lo:[0,0,1] neg_hi:[0,0,1]
	v_pk_fma_f16 v13, v13, 2.0, v18 op_sel_hi:[1,0,1] neg_lo:[0,0,1] neg_hi:[0,0,1]
	v_lshrrev_b32_e32 v39, 16, v16
	v_sub_f16_sdwa v30, v0, v1 dst_sel:DWORD dst_unused:UNUSED_PAD src0_sel:DWORD src1_sel:WORD_1
	v_sub_f16_sdwa v35, v23, v26 dst_sel:DWORD dst_unused:UNUSED_PAD src0_sel:DWORD src1_sel:WORD_1
	v_pk_add_f16 v2, v7, v2 neg_lo:[0,1] neg_hi:[0,1]
	v_pk_add_f16 v9, v8, v11 neg_lo:[0,1] neg_hi:[0,1]
	;; [unrolled: 1-line block ×3, first 2 shown]
	v_add_f16_e32 v14, v34, v26
	v_pk_add_f16 v27, v21, v25 neg_lo:[0,1] neg_hi:[0,1]
	v_add_f16_e32 v1, v31, v1
	v_sub_f16_sdwa v12, v3, v28 dst_sel:DWORD dst_unused:UNUSED_PAD src0_sel:DWORD src1_sel:WORD_1
	v_add_f16_e32 v26, v32, v28
	v_sub_f16_sdwa v36, v15, v18 dst_sel:DWORD dst_unused:UNUSED_PAD src0_sel:DWORD src1_sel:WORD_1
	v_add_f16_e32 v18, v37, v18
	v_sub_f16_sdwa v38, v16, v19 dst_sel:DWORD dst_unused:UNUSED_PAD src0_sel:DWORD src1_sel:WORD_1
	v_pk_add_f16 v13, v33, v13 neg_lo:[0,1] neg_hi:[0,1]
	v_add_f16_e32 v19, v39, v19
	v_fma_f16 v23, v23, 2.0, -v35
	v_fma_f16 v40, v0, 2.0, -v30
	v_pk_fma_f16 v0, v7, 2.0, v2 op_sel_hi:[1,0,1] neg_lo:[0,0,1] neg_hi:[0,0,1]
	v_pk_fma_f16 v7, v8, 2.0, v9 op_sel_hi:[1,0,1] neg_lo:[0,0,1] neg_hi:[0,0,1]
	v_fma_f16 v8, v34, 2.0, -v14
	v_pk_fma_f16 v25, v21, 2.0, v27 op_sel_hi:[1,0,1] neg_lo:[0,0,1] neg_hi:[0,0,1]
	v_fma_f16 v21, v31, 2.0, -v1
	v_fma_f16 v41, v3, 2.0, -v12
	;; [unrolled: 1-line block ×6, first 2 shown]
	v_pk_fma_f16 v11, v33, 2.0, v13 op_sel_hi:[1,0,1] neg_lo:[0,0,1] neg_hi:[0,0,1]
	v_fma_f16 v33, v39, 2.0, -v19
	v_pk_fma_f16 v15, v10, 2.0, v17 op_sel_hi:[1,0,1] neg_lo:[0,0,1] neg_hi:[0,0,1]
	v_pack_b32_f16 v28, v35, v14
	v_pack_b32_f16 v10, v12, v26
	;; [unrolled: 1-line block ×10, first 2 shown]
	ds_write_b128 v78, v[25:28]
	ds_write_b128 v79, v[0:3]
	ds_write_b128 v80, v[7:10]
	ds_write_b128 v81, v[11:14]
	ds_write_b128 v77, v[15:18] offset:32000
	s_waitcnt lgkmcnt(0)
	s_barrier
	buffer_gl0_inv
	global_load_dwordx4 v[0:3], v29, s[2:3]
	v_mov_b32_e32 v8, 0xcccd
	v_mul_u32_u24_e32 v9, 0xcccd, v71
	v_lshrrev_b32_e32 v10, 2, v22
	v_lshrrev_b32_e32 v7, 2, v71
	;; [unrolled: 1-line block ×5, first 2 shown]
	v_mul_u32_u24_sdwa v9, v22, v8 dst_sel:DWORD dst_unused:UNUSED_PAD src0_sel:WORD_0 src1_sel:DWORD
	v_mul_u32_u24_sdwa v13, v5, v8 dst_sel:DWORD dst_unused:UNUSED_PAD src0_sel:WORD_0 src1_sel:DWORD
	;; [unrolled: 1-line block ×3, first 2 shown]
	v_mul_u32_u24_e32 v10, 20, v10
	v_mul_lo_u16 v14, v21, 20
	v_lshrrev_b32_e32 v23, 20, v9
	v_mul_u32_u24_e32 v7, 20, v7
	v_mul_u32_u24_e32 v11, 20, v11
	v_mul_u32_u24_e32 v12, 20, v12
	v_lshrrev_b32_e32 v26, 20, v8
	v_or_b32_e32 v8, v10, v6
	v_mul_lo_u16 v10, v23, 20
	v_sub_nc_u16 v27, v20, v14
	v_or_b32_e32 v7, v7, v6
	v_or_b32_e32 v9, v11, v6
	;; [unrolled: 1-line block ×3, first 2 shown]
	v_sub_nc_u16 v28, v22, v10
	v_lshlrev_b16 v10, 4, v27
	v_mul_lo_u16 v11, v26, 20
	v_lshrrev_b32_e32 v25, 20, v13
	v_lshlrev_b32_e32 v83, 2, v6
	v_lshlrev_b32_e32 v82, 2, v9
	v_and_b32_e32 v6, 0xffff, v10
	v_sub_nc_u16 v32, v4, v11
	v_lshlrev_b32_e32 v87, 2, v7
	v_mul_lo_u16 v7, v25, 20
	v_lshlrev_b32_e32 v86, 2, v8
	v_add_co_u32 v4, s0, s2, v6
	ds_read_b32 v6, v67 offset:8000
	ds_read_b32 v9, v67 offset:16000
	;; [unrolled: 1-line block ×19, first 2 shown]
	ds_read_b32 v38, v67
	s_waitcnt lgkmcnt(19)
	v_lshrrev_b32_e32 v39, 16, v6
	s_waitcnt lgkmcnt(18)
	v_lshrrev_b32_e32 v40, 16, v9
	;; [unrolled: 2-line block ×20, first 2 shown]
	v_sub_nc_u16 v29, v5, v7
	v_lshlrev_b16 v5, 4, v28
	s_waitcnt vmcnt(0)
	s_barrier
	buffer_gl0_inv
	v_lshlrev_b16 v7, 4, v29
	v_and_b32_e32 v8, 0xffff, v5
	v_add_co_ci_u32_e64 v5, null, s3, 0, s0
	v_mul_f16_sdwa v93, v39, v0 dst_sel:DWORD dst_unused:UNUSED_PAD src0_sel:DWORD src1_sel:WORD_1
	v_mul_f16_sdwa v94, v6, v0 dst_sel:DWORD dst_unused:UNUSED_PAD src0_sel:DWORD src1_sel:WORD_1
	;; [unrolled: 1-line block ×32, first 2 shown]
	v_fma_f16 v6, v6, v0, -v93
	v_fmac_f16_e32 v94, v39, v0
	v_fma_f16 v9, v9, v1, -v95
	v_fmac_f16_e32 v96, v40, v1
	;; [unrolled: 2-line block ×16, first 2 shown]
	v_add_f16_e32 v41, v9, v10
	v_add_f16_e32 v43, v38, v6
	v_sub_f16_e32 v44, v9, v6
	v_sub_f16_e32 v45, v10, v11
	;; [unrolled: 1-line block ×4, first 2 shown]
	v_add_f16_e32 v48, v96, v98
	v_add_f16_e32 v50, v89, v94
	;; [unrolled: 1-line block ×4, first 2 shown]
	v_sub_f16_e32 v39, v6, v9
	v_sub_f16_e32 v40, v11, v10
	v_add_f16_e32 v42, v6, v11
	v_add_f16_e32 v49, v94, v100
	;; [unrolled: 1-line block ×6, first 2 shown]
	v_sub_f16_e32 v85, v14, v16
	v_sub_f16_e32 v88, v13, v12
	v_add_f16_e32 v93, v16, v12
	v_add_f16_e32 v107, v104, v106
	v_sub_f16_e32 v51, v96, v94
	v_sub_f16_e32 v84, v98, v100
	v_add_f16_e32 v95, v14, v13
	v_sub_f16_e32 v103, v102, v104
	v_sub_f16_e32 v105, v108, v106
	v_add_f16_e32 v109, v102, v108
	v_add_f16_e32 v121, v17, v19
	v_add_f16_e32 v123, v15, v30
	v_add_f16_e32 v130, v112, v114
	v_add_f16_e32 v131, v110, v116
	v_sub_f16_e32 v117, v15, v17
	v_sub_f16_e32 v119, v30, v19
	;; [unrolled: 1-line block ×3, first 2 shown]
	v_add_f16_e32 v137, v33, v35
	v_add_f16_e32 v138, v34, v36
	;; [unrolled: 1-line block ×4, first 2 shown]
	v_sub_f16_e32 v149, v9, v10
	v_sub_f16_e32 v150, v96, v98
	;; [unrolled: 1-line block ×3, first 2 shown]
	v_fma_f16 v41, -0.5, v41, v38
	v_sub_f16_e32 v6, v6, v11
	v_sub_f16_e32 v94, v94, v100
	v_add_f16_e32 v44, v44, v45
	v_add_f16_e32 v45, v46, v47
	v_fma_f16 v46, -0.5, v48, v89
	v_add_f16_e32 v9, v43, v9
	v_add_f16_e32 v43, v50, v96
	;; [unrolled: 1-line block ×4, first 2 shown]
	v_sub_f16_e32 v99, v16, v14
	v_sub_f16_e32 v135, v34, v33
	;; [unrolled: 1-line block ×4, first 2 shown]
	v_add_f16_e32 v39, v39, v40
	v_sub_f16_e32 v40, v33, v35
	v_fmac_f16_e32 v38, -0.5, v42
	v_fmac_f16_e32 v89, -0.5, v49
	v_add_f16_e32 v16, v97, v16
	v_add_f16_e32 v50, v111, v104
	;; [unrolled: 1-line block ×4, first 2 shown]
	v_sub_f16_e32 v113, v104, v102
	v_sub_f16_e32 v14, v14, v13
	;; [unrolled: 1-line block ×3, first 2 shown]
	v_add_f16_e32 v48, v85, v88
	v_fma_f16 v49, -0.5, v93, v37
	v_fma_f16 v85, -0.5, v107, v90
	v_sub_f16_e32 v152, v104, v106
	v_sub_f16_e32 v154, v112, v114
	v_add_f16_e32 v47, v51, v84
	v_fmac_f16_e32 v37, -0.5, v95
	v_add_f16_e32 v84, v103, v105
	v_fmac_f16_e32 v90, -0.5, v109
	v_fma_f16 v95, -0.5, v121, v18
	v_fmac_f16_e32 v18, -0.5, v123
	v_fma_f16 v103, -0.5, v130, v91
	v_fmac_f16_e32 v91, -0.5, v131
	v_sub_f16_e32 v101, v12, v13
	v_sub_f16_e32 v127, v19, v30
	;; [unrolled: 1-line block ×11, first 2 shown]
	v_add_f16_e32 v93, v117, v119
	v_fma_f16 v109, -0.5, v137, v31
	v_fmac_f16_e32 v31, -0.5, v138
	v_fma_f16 v117, -0.5, v144, v92
	v_fmac_f16_e32 v92, -0.5, v145
	v_add_f16_e32 v9, v9, v10
	v_add_f16_e32 v10, v43, v98
	;; [unrolled: 1-line block ×4, first 2 shown]
	v_fmamk_f16 v43, v94, 0x3b9c, v41
	v_fmamk_f16 v96, v6, 0xbb9c, v46
	v_sub_f16_e32 v136, v36, v35
	v_sub_f16_e32 v141, v35, v36
	v_add_f16_e32 v12, v16, v12
	v_add_f16_e32 v16, v50, v106
	;; [unrolled: 1-line block ×4, first 2 shown]
	v_fmamk_f16 v50, v150, 0xbb9c, v38
	v_fmac_f16_e32 v38, 0x3b9c, v150
	v_fmamk_f16 v97, v149, 0x3b9c, v89
	v_fmac_f16_e32 v89, 0xbb9c, v149
	v_fmac_f16_e32 v41, 0xbb9c, v94
	;; [unrolled: 1-line block ×3, first 2 shown]
	v_sub_f16_e32 v115, v106, v108
	v_fmamk_f16 v98, v102, 0x3b9c, v49
	v_fmamk_f16 v106, v14, 0xbb9c, v85
	v_sub_f16_e32 v129, v116, v114
	v_sub_f16_e32 v134, v114, v116
	v_fmamk_f16 v104, v152, 0xbb9c, v37
	v_fmac_f16_e32 v37, 0x3b9c, v152
	v_fmamk_f16 v111, v151, 0x3b9c, v90
	v_fmac_f16_e32 v90, 0xbb9c, v151
	;; [unrolled: 2-line block ×4, first 2 shown]
	v_sub_f16_e32 v143, v124, v122
	v_sub_f16_e32 v148, v122, v124
	v_add_f16_e32 v51, v99, v101
	v_add_f16_e32 v99, v126, v127
	v_fmac_f16_e32 v49, 0xbb9c, v102
	v_fmac_f16_e32 v85, 0x3b9c, v14
	v_fmamk_f16 v112, v110, 0x3b9c, v95
	v_fmac_f16_e32 v95, 0xbb9c, v110
	v_fmamk_f16 v120, v15, 0xbb9c, v103
	;; [unrolled: 2-line block ×6, first 2 shown]
	v_fmac_f16_e32 v92, 0xbb9c, v40
	v_fmac_f16_e32 v43, 0x38b4, v150
	;; [unrolled: 1-line block ×11, first 2 shown]
	v_add_f16_e32 v88, v113, v115
	v_add_f16_e32 v105, v133, v134
	v_fmac_f16_e32 v104, 0x38b4, v102
	v_fmac_f16_e32 v37, 0xb8b4, v102
	;; [unrolled: 1-line block ×6, first 2 shown]
	v_add_f16_e32 v101, v128, v129
	v_add_f16_e32 v107, v135, v136
	;; [unrolled: 1-line block ×8, first 2 shown]
	v_fmac_f16_e32 v49, 0xb8b4, v152
	v_fmac_f16_e32 v85, 0x38b4, v151
	v_add_f16_e32 v12, v17, v30
	v_fmac_f16_e32 v112, 0x38b4, v154
	v_fmac_f16_e32 v95, 0xb8b4, v154
	;; [unrolled: 1-line block ×3, first 2 shown]
	v_add_f16_e32 v13, v19, v116
	v_fmac_f16_e32 v120, 0xb8b4, v153
	v_fmac_f16_e32 v103, 0x38b4, v153
	;; [unrolled: 1-line block ×13, first 2 shown]
	v_add_f16_e32 v11, v16, v108
	v_add_f16_e32 v14, v33, v36
	;; [unrolled: 1-line block ×3, first 2 shown]
	v_fmac_f16_e32 v50, 0x34f2, v44
	v_fmac_f16_e32 v38, 0x34f2, v44
	;; [unrolled: 1-line block ×30, first 2 shown]
	v_pack_b32_f16 v9, v9, v10
	v_pack_b32_f16 v10, v12, v13
	v_pack_b32_f16 v12, v43, v96
	v_pack_b32_f16 v6, v6, v11
	v_pack_b32_f16 v11, v14, v15
	v_pack_b32_f16 v13, v50, v97
	v_pack_b32_f16 v14, v38, v89
	v_pack_b32_f16 v15, v41, v46
	v_pack_b32_f16 v16, v98, v106
	v_pack_b32_f16 v17, v104, v111
	v_pack_b32_f16 v19, v37, v90
	v_pack_b32_f16 v18, v18, v91
	v_pack_b32_f16 v30, v49, v85
	v_pack_b32_f16 v33, v112, v120
	v_pack_b32_f16 v34, v114, v121
	v_pack_b32_f16 v35, v95, v103
	v_pack_b32_f16 v36, v122, v125
	v_pack_b32_f16 v37, v123, v126
	v_pack_b32_f16 v31, v31, v92
	v_pack_b32_f16 v38, v109, v117
	ds_write2_b32 v87, v9, v12 offset1:4
	ds_write2_b32 v87, v13, v14 offset0:8 offset1:12
	ds_write_b32 v87, v15 offset:64
	ds_write2_b32 v86, v6, v16 offset1:4
	ds_write2_b32 v86, v17, v19 offset0:8 offset1:12
	ds_write_b32 v86, v30 offset:64
	;; [unrolled: 3-line block ×4, first 2 shown]
	s_waitcnt lgkmcnt(0)
	s_barrier
	buffer_gl0_inv
	global_load_dwordx4 v[16:19], v[4:5], off offset:64
	v_add_co_u32 v4, s0, s2, v8
	v_add_co_ci_u32_e64 v5, null, s3, 0, s0
	v_and_b32_e32 v6, 0xffff, v7
	v_lshlrev_b16 v7, 4, v32
	v_mov_b32_e32 v31, 0x147b
	global_load_dwordx4 v[12:15], v[4:5], off offset:64
	v_lshrrev_b16 v30, 2, v20
	v_add_co_u32 v4, s0, s2, v6
	v_add_co_ci_u32_e64 v5, null, s3, 0, s0
	v_and_b32_e32 v6, 0xffff, v7
	v_mul_u32_u24_sdwa v30, v30, v31 dst_sel:DWORD dst_unused:UNUSED_PAD src0_sel:WORD_0 src1_sel:DWORD
	v_lshrrev_b16 v33, 2, v22
	global_load_dwordx4 v[8:11], v[4:5], off offset:64
	v_add_co_u32 v4, s0, s2, v6
	v_add_co_ci_u32_e64 v5, null, s3, 0, s0
	v_lshrrev_b32_e32 v30, 17, v30
	v_mul_u32_u24_sdwa v33, v33, v31 dst_sel:DWORD dst_unused:UNUSED_PAD src0_sel:WORD_0 src1_sel:DWORD
	global_load_dwordx4 v[4:7], v[4:5], off offset:64
	v_mul_lo_u16 v34, 0x64, v30
	v_sub_nc_u16 v31, v20, v34
	v_mad_u16 v20, 0x64, v21, v27
	v_mad_u16 v21, 0x64, v23, v28
	;; [unrolled: 1-line block ×4, first 2 shown]
	v_mul_lo_u16 v26, v31, 36
	v_lshlrev_b32_sdwa v94, v24, v20 dst_sel:DWORD dst_unused:UNUSED_PAD src0_sel:DWORD src1_sel:WORD_0
	v_lshlrev_b32_sdwa v92, v24, v21 dst_sel:DWORD dst_unused:UNUSED_PAD src0_sel:DWORD src1_sel:WORD_0
	v_lshlrev_b32_sdwa v89, v24, v23 dst_sel:DWORD dst_unused:UNUSED_PAD src0_sel:DWORD src1_sel:WORD_0
	v_lshlrev_b32_sdwa v88, v24, v25 dst_sel:DWORD dst_unused:UNUSED_PAD src0_sel:DWORD src1_sel:WORD_0
	ds_read_b32 v20, v67 offset:8000
	ds_read_b32 v21, v67 offset:32000
	;; [unrolled: 1-line block ×6, first 2 shown]
	ds_read_b32 v29, v67
	ds_read_b32 v32, v67 offset:10000
	ds_read_b32 v34, v67 offset:22000
	;; [unrolled: 1-line block ×13, first 2 shown]
	s_waitcnt lgkmcnt(19)
	v_lshrrev_b32_e32 v46, 16, v20
	s_waitcnt lgkmcnt(18)
	v_lshrrev_b32_e32 v49, 16, v21
	;; [unrolled: 2-line block ×20, first 2 shown]
	s_waitcnt vmcnt(0)
	s_barrier
	buffer_gl0_inv
	v_and_b32_e32 v26, 0xffff, v26
	v_mul_f16_sdwa v104, v46, v16 dst_sel:DWORD dst_unused:UNUSED_PAD src0_sel:DWORD src1_sel:WORD_1
	v_mul_f16_sdwa v105, v20, v16 dst_sel:DWORD dst_unused:UNUSED_PAD src0_sel:DWORD src1_sel:WORD_1
	;; [unrolled: 1-line block ×16, first 2 shown]
	v_fma_f16 v20, v20, v16, -v104
	v_mul_f16_sdwa v120, v93, v8 dst_sel:DWORD dst_unused:UNUSED_PAD src0_sel:DWORD src1_sel:WORD_1
	v_mul_f16_sdwa v121, v38, v8 dst_sel:DWORD dst_unused:UNUSED_PAD src0_sel:DWORD src1_sel:WORD_1
	;; [unrolled: 1-line block ×8, first 2 shown]
	v_fmac_f16_e32 v105, v46, v16
	v_mul_f16_sdwa v128, v99, v4 dst_sel:DWORD dst_unused:UNUSED_PAD src0_sel:DWORD src1_sel:WORD_1
	v_mul_f16_sdwa v130, v100, v5 dst_sel:DWORD dst_unused:UNUSED_PAD src0_sel:DWORD src1_sel:WORD_1
	;; [unrolled: 1-line block ×7, first 2 shown]
	v_fma_f16 v23, v23, v17, -v106
	v_fmac_f16_e32 v107, v47, v17
	v_fma_f16 v28, v28, v18, -v108
	v_fma_f16 v21, v21, v19, -v110
	v_fmac_f16_e32 v109, v48, v18
	v_fmac_f16_e32 v111, v49, v19
	v_mul_f16_sdwa v129, v39, v4 dst_sel:DWORD dst_unused:UNUSED_PAD src0_sel:DWORD src1_sel:WORD_1
	v_fma_f16 v32, v32, v12, -v112
	v_fma_f16 v25, v25, v13, -v114
	;; [unrolled: 1-line block ×4, first 2 shown]
	v_fmac_f16_e32 v115, v84, v13
	v_fmac_f16_e32 v117, v85, v14
	;; [unrolled: 1-line block ×4, first 2 shown]
	v_fma_f16 v38, v38, v8, -v120
	v_fmac_f16_e32 v121, v93, v8
	v_fma_f16 v27, v27, v9, -v122
	v_fmac_f16_e32 v123, v95, v9
	;; [unrolled: 2-line block ×4, first 2 shown]
	v_fma_f16 v39, v39, v4, -v128
	v_fma_f16 v34, v34, v5, -v130
	v_fmac_f16_e32 v131, v100, v5
	v_fma_f16 v44, v44, v6, -v132
	v_fmac_f16_e32 v133, v101, v6
	;; [unrolled: 2-line block ×3, first 2 shown]
	v_sub_f16_e32 v46, v20, v23
	v_sub_f16_e32 v47, v21, v28
	v_add_f16_e32 v51, v29, v20
	v_add_f16_e32 v84, v50, v105
	;; [unrolled: 1-line block ×5, first 2 shown]
	v_fmac_f16_e32 v129, v99, v4
	v_sub_f16_e32 v48, v105, v107
	v_sub_f16_e32 v49, v111, v109
	;; [unrolled: 1-line block ×5, first 2 shown]
	v_add_f16_e32 v20, v20, v21
	v_sub_f16_e32 v101, v107, v105
	v_sub_f16_e32 v104, v109, v111
	;; [unrolled: 1-line block ×4, first 2 shown]
	v_add_f16_e32 v116, v25, v35
	v_add_f16_e32 v118, v115, v117
	v_sub_f16_e32 v100, v28, v21
	v_sub_f16_e32 v108, v113, v115
	;; [unrolled: 1-line block ×3, first 2 shown]
	v_add_f16_e32 v112, v37, v32
	v_add_f16_e32 v114, v91, v113
	v_sub_f16_e32 v120, v113, v119
	v_sub_f16_e32 v124, v32, v36
	;; [unrolled: 1-line block ×3, first 2 shown]
	v_add_f16_e32 v32, v32, v36
	v_sub_f16_e32 v132, v115, v113
	v_add_f16_e32 v113, v113, v119
	v_sub_f16_e32 v95, v107, v109
	v_sub_f16_e32 v97, v23, v28
	;; [unrolled: 1-line block ×8, first 2 shown]
	v_add_f16_e32 v140, v43, v38
	v_add_f16_e32 v141, v98, v121
	;; [unrolled: 1-line block ×8, first 2 shown]
	v_sub_f16_e32 v51, v34, v39
	v_add_f16_e32 v84, v84, v107
	v_sub_f16_e32 v107, v44, v45
	v_fma_f16 v85, -0.5, v85, v29
	v_fma_f16 v90, -0.5, v90, v50
	v_fmac_f16_e32 v50, -0.5, v102
	v_add_f16_e32 v102, v131, v133
	v_add_f16_e32 v48, v48, v49
	;; [unrolled: 1-line block ×3, first 2 shown]
	v_fmac_f16_e32 v29, -0.5, v20
	v_add_f16_e32 v101, v101, v104
	v_add_f16_e32 v104, v129, v135
	;; [unrolled: 1-line block ×4, first 2 shown]
	v_fma_f16 v116, -0.5, v116, v37
	v_fma_f16 v118, -0.5, v118, v91
	v_sub_f16_e32 v122, v115, v117
	v_sub_f16_e32 v126, v25, v35
	;; [unrolled: 1-line block ×3, first 2 shown]
	v_add_f16_e32 v99, v99, v100
	v_sub_f16_e32 v100, v135, v133
	v_add_f16_e32 v108, v108, v110
	v_sub_f16_e32 v110, v131, v129
	;; [unrolled: 2-line block ×3, first 2 shown]
	v_fmac_f16_e32 v37, -0.5, v32
	v_fmac_f16_e32 v91, -0.5, v113
	v_sub_f16_e32 v144, v121, v127
	v_sub_f16_e32 v145, v123, v125
	;; [unrolled: 1-line block ×5, first 2 shown]
	v_add_f16_e32 v38, v38, v41
	v_sub_f16_e32 v150, v123, v121
	v_add_f16_e32 v114, v114, v115
	v_add_f16_e32 v128, v128, v130
	;; [unrolled: 1-line block ×7, first 2 shown]
	v_fma_f16 v134, -0.5, v142, v43
	v_fma_f16 v136, -0.5, v143, v98
	;; [unrolled: 1-line block ×3, first 2 shown]
	v_fmac_f16_e32 v42, -0.5, v47
	v_add_f16_e32 v47, v51, v107
	v_fma_f16 v51, -0.5, v102, v103
	v_add_f16_e32 v23, v23, v28
	v_add_f16_e32 v28, v84, v109
	v_fmamk_f16 v84, v93, 0x3b9c, v85
	v_fmamk_f16 v102, v96, 0xbb9c, v90
	v_sub_f16_e32 v152, v39, v34
	v_sub_f16_e32 v115, v34, v44
	v_fmac_f16_e32 v103, -0.5, v104
	v_add_f16_e32 v34, v49, v34
	v_add_f16_e32 v49, v106, v131
	v_fmamk_f16 v104, v95, 0xbb9c, v29
	v_fmac_f16_e32 v29, 0x3b9c, v95
	v_fmamk_f16 v106, v97, 0x3b9c, v50
	v_fmac_f16_e32 v50, 0xbb9c, v97
	v_sub_f16_e32 v39, v39, v45
	v_sub_f16_e32 v129, v129, v135
	v_fmac_f16_e32 v85, 0xbb9c, v93
	v_fmac_f16_e32 v90, 0x3b9c, v96
	v_fmamk_f16 v107, v120, 0x3b9c, v116
	v_fmamk_f16 v109, v124, 0xbb9c, v118
	v_add_f16_e32 v20, v20, v100
	v_add_f16_e32 v100, v110, v112
	v_fmamk_f16 v110, v122, 0xbb9c, v37
	v_fmac_f16_e32 v37, 0x3b9c, v122
	v_fmamk_f16 v112, v126, 0x3b9c, v91
	v_fmac_f16_e32 v91, 0xbb9c, v126
	v_sub_f16_e32 v149, v40, v41
	v_fmac_f16_e32 v43, -0.5, v38
	v_add_f16_e32 v25, v25, v35
	v_add_f16_e32 v35, v114, v117
	v_fmac_f16_e32 v116, 0xbb9c, v120
	v_fmac_f16_e32 v118, 0x3b9c, v124
	v_add_f16_e32 v27, v27, v40
	v_add_f16_e32 v40, v123, v125
	v_fmamk_f16 v114, v144, 0x3b9c, v134
	v_fmamk_f16 v117, v146, 0xbb9c, v136
	v_fmac_f16_e32 v84, 0x38b4, v95
	v_fmac_f16_e32 v102, 0xb8b4, v97
	;; [unrolled: 1-line block ×6, first 2 shown]
	v_add_f16_e32 v121, v121, v127
	v_sub_f16_e32 v151, v125, v127
	v_sub_f16_e32 v153, v45, v44
	;; [unrolled: 1-line block ×3, first 2 shown]
	v_add_f16_e32 v34, v34, v44
	v_add_f16_e32 v44, v49, v133
	v_fmamk_f16 v125, v129, 0x3b9c, v138
	v_fmac_f16_e32 v138, 0xbb9c, v129
	v_fmamk_f16 v133, v39, 0xbb9c, v51
	v_fmac_f16_e32 v51, 0x3b9c, v39
	v_fmac_f16_e32 v85, 0xb8b4, v95
	;; [unrolled: 1-line block ×9, first 2 shown]
	v_fmamk_f16 v49, v145, 0xbb9c, v43
	v_fmac_f16_e32 v43, 0x3b9c, v145
	v_add_f16_e32 v21, v23, v21
	v_add_f16_e32 v23, v28, v111
	;; [unrolled: 1-line block ×4, first 2 shown]
	v_fmac_f16_e32 v116, 0xb8b4, v122
	v_fmac_f16_e32 v118, 0x38b4, v126
	v_add_f16_e32 v27, v27, v41
	v_add_f16_e32 v35, v40, v127
	v_fmac_f16_e32 v114, 0x38b4, v145
	v_fmac_f16_e32 v117, 0xb8b4, v147
	v_fmac_f16_e32 v84, 0x34f2, v46
	v_fmac_f16_e32 v102, 0x34f2, v48
	v_fmac_f16_e32 v104, 0x34f2, v99
	v_fmac_f16_e32 v29, 0x34f2, v99
	v_fmac_f16_e32 v106, 0x34f2, v101
	v_fmac_f16_e32 v50, 0x34f2, v101
	v_fmac_f16_e32 v98, -0.5, v121
	v_fmamk_f16 v131, v32, 0xbb9c, v42
	v_fmac_f16_e32 v42, 0x3b9c, v32
	v_add_f16_e32 v34, v34, v45
	v_fmac_f16_e32 v125, 0x38b4, v32
	v_fmac_f16_e32 v138, 0xb8b4, v32
	v_add_f16_e32 v32, v44, v135
	v_fmac_f16_e32 v133, 0xb8b4, v115
	v_fmac_f16_e32 v51, 0x38b4, v115
	;; [unrolled: 1-line block ×10, first 2 shown]
	v_add_f16_e32 v38, v148, v149
	v_fmac_f16_e32 v49, 0x38b4, v144
	v_fmac_f16_e32 v43, 0xb8b4, v144
	v_pack_b32_f16 v21, v21, v23
	v_pack_b32_f16 v23, v25, v28
	v_fmac_f16_e32 v116, 0x34f2, v105
	v_fmac_f16_e32 v118, 0x34f2, v108
	v_pack_b32_f16 v25, v27, v35
	v_fmac_f16_e32 v114, 0x34f2, v130
	v_fmac_f16_e32 v117, 0x34f2, v132
	v_pack_b32_f16 v27, v84, v102
	v_pack_b32_f16 v28, v104, v106
	;; [unrolled: 1-line block ×3, first 2 shown]
	v_fmamk_f16 v123, v147, 0x3b9c, v98
	v_fmac_f16_e32 v98, 0xbb9c, v147
	v_fmac_f16_e32 v133, 0x34f2, v20
	;; [unrolled: 1-line block ×3, first 2 shown]
	v_pack_b32_f16 v20, v34, v32
	v_pack_b32_f16 v32, v85, v90
	v_fmac_f16_e32 v134, 0xbb9c, v144
	v_fmac_f16_e32 v136, 0x3b9c, v146
	v_fmamk_f16 v139, v115, 0x3b9c, v103
	v_fmac_f16_e32 v103, 0xbb9c, v115
	v_pack_b32_f16 v34, v107, v109
	v_pack_b32_f16 v35, v110, v112
	;; [unrolled: 1-line block ×3, first 2 shown]
	v_fmac_f16_e32 v49, 0x34f2, v38
	v_fmac_f16_e32 v43, 0x34f2, v38
	v_pack_b32_f16 v37, v116, v118
	v_pack_b32_f16 v38, v114, v117
	ds_write2_b32 v94, v21, v27 offset1:20
	ds_write2_b32 v94, v28, v29 offset0:40 offset1:60
	ds_write_b32 v94, v32 offset:320
	ds_write2_b32 v92, v23, v34 offset1:20
	ds_write2_b32 v92, v35, v36 offset0:40 offset1:60
	ds_write_b32 v92, v37 offset:320
	ds_write2_b32 v89, v25, v38 offset1:20
	v_lshrrev_b32_e32 v25, 17, v33
	v_add_f16_e32 v121, v150, v151
	v_add_f16_e32 v137, v152, v153
	v_fmac_f16_e32 v123, 0xb8b4, v146
	v_fmac_f16_e32 v98, 0x38b4, v146
	;; [unrolled: 1-line block ×8, first 2 shown]
	v_mul_lo_u16 v27, 0x64, v25
	v_fmac_f16_e32 v123, 0x34f2, v121
	v_fmac_f16_e32 v98, 0x34f2, v121
	;; [unrolled: 1-line block ×9, first 2 shown]
	v_sub_nc_u16 v28, v22, v27
	v_pack_b32_f16 v39, v49, v123
	v_pack_b32_f16 v40, v43, v98
	;; [unrolled: 1-line block ×6, first 2 shown]
	v_fmac_f16_e32 v138, 0x34f2, v137
	v_mul_lo_u16 v22, v28, 36
	ds_write2_b32 v89, v39, v40 offset0:40 offset1:60
	ds_write_b32 v89, v41 offset:320
	ds_write2_b32 v88, v20, v43 offset1:20
	ds_write2_b32 v88, v21, v23 offset0:40 offset1:60
	v_add_co_u32 v20, s0, s2, v26
	v_pack_b32_f16 v23, v138, v51
	v_add_co_ci_u32_e64 v21, null, s3, 0, s0
	v_and_b32_e32 v22, 0xffff, v22
	ds_write_b32 v88, v23 offset:320
	s_waitcnt lgkmcnt(0)
	s_barrier
	buffer_gl0_inv
	s_clause 0x1
	global_load_dwordx4 v[44:47], v[20:21], off offset:384
	global_load_dwordx4 v[48:51], v[20:21], off offset:400
	v_add_co_u32 v26, s0, s2, v22
	v_add_co_ci_u32_e64 v27, null, s3, 0, s0
	s_clause 0x3
	global_load_dword v95, v[20:21], off offset:416
	global_load_dwordx4 v[40:43], v[26:27], off offset:384
	global_load_dwordx4 v[20:23], v[26:27], off offset:400
	global_load_dword v90, v[26:27], off offset:416
	v_mad_u16 v26, 0x3e8, v30, v31
	v_mad_u16 v27, 0x3e8, v25, v28
	v_lshlrev_b32_sdwa v91, v24, v26 dst_sel:DWORD dst_unused:UNUSED_PAD src0_sel:DWORD src1_sel:WORD_0
	ds_read_b32 v29, v67 offset:4000
	ds_read_b32 v30, v67 offset:6000
	;; [unrolled: 1-line block ×12, first 2 shown]
	ds_read_b32 v96, v67
	ds_read_b32 v97, v67 offset:18000
	ds_read_b32 v98, v67 offset:14000
	;; [unrolled: 1-line block ×7, first 2 shown]
	s_waitcnt vmcnt(0) lgkmcnt(0)
	s_barrier
	v_add_nc_u32_e32 v93, 0x200, v91
	v_lshrrev_b32_e32 v104, 16, v29
	v_lshrrev_b32_e32 v114, 16, v30
	v_lshrrev_b32_e32 v105, 16, v31
	v_lshrrev_b32_e32 v106, 16, v32
	v_lshrrev_b32_e32 v107, 16, v33
	v_lshrrev_b32_e32 v109, 16, v34
	v_lshrrev_b32_e32 v118, 16, v35
	v_lshrrev_b32_e32 v108, 16, v36
	v_lshrrev_b32_e32 v110, 16, v37
	v_lshrrev_b32_e32 v111, 16, v38
	v_lshrrev_b32_e32 v112, 16, v39
	v_lshrrev_b32_e32 v25, 16, v26
	v_lshrrev_b32_e32 v113, 16, v96
	v_lshrrev_b32_e32 v117, 16, v97
	v_lshrrev_b32_e32 v120, 16, v100
	v_lshrrev_b32_e32 v115, 16, v99
	v_lshrrev_b32_e32 v116, 16, v98
	v_lshrrev_b32_e32 v119, 16, v101
	v_lshrrev_b32_e32 v122, 16, v102
	v_lshrrev_b32_e32 v121, 16, v103
	v_add_nc_u32_e32 v84, 0x400, v91
	v_add_nc_u32_e32 v85, 0x800, v91
	buffer_gl0_inv
	v_mul_f16_sdwa v123, v104, v44 dst_sel:DWORD dst_unused:UNUSED_PAD src0_sel:DWORD src1_sel:WORD_1
	v_mul_f16_sdwa v127, v106, v46 dst_sel:DWORD dst_unused:UNUSED_PAD src0_sel:DWORD src1_sel:WORD_1
	;; [unrolled: 1-line block ×11, first 2 shown]
	v_fma_f16 v29, v29, v44, -v123
	v_fma_f16 v32, v32, v46, -v127
	v_mul_f16_sdwa v126, v31, v45 dst_sel:DWORD dst_unused:UNUSED_PAD src0_sel:DWORD src1_sel:WORD_1
	v_mul_f16_sdwa v130, v33, v47 dst_sel:DWORD dst_unused:UNUSED_PAD src0_sel:DWORD src1_sel:WORD_1
	;; [unrolled: 1-line block ×12, first 2 shown]
	v_fma_f16 v31, v31, v45, -v125
	v_fma_f16 v33, v33, v47, -v129
	;; [unrolled: 1-line block ×6, first 2 shown]
	v_fmac_f16_e32 v143, v115, v41
	v_add_f16_e32 v115, v29, v32
	v_mul_f16_sdwa v145, v98, v42 dst_sel:DWORD dst_unused:UNUSED_PAD src0_sel:DWORD src1_sel:WORD_1
	v_fmac_f16_e32 v124, v104, v44
	v_fmac_f16_e32 v128, v106, v46
	v_mul_f16_sdwa v28, v30, v40 dst_sel:DWORD dst_unused:UNUSED_PAD src0_sel:DWORD src1_sel:WORD_1
	v_mul_f16_sdwa v151, v101, v21 dst_sel:DWORD dst_unused:UNUSED_PAD src0_sel:DWORD src1_sel:WORD_1
	;; [unrolled: 1-line block ×3, first 2 shown]
	v_fmac_f16_e32 v126, v105, v45
	v_fmac_f16_e32 v130, v107, v47
	;; [unrolled: 1-line block ×4, first 2 shown]
	v_fma_f16 v39, v39, v95, -v139
	v_fmac_f16_e32 v140, v112, v95
	v_fma_f16 v105, v97, v43, -v146
	v_fmac_f16_e32 v147, v117, v43
	v_fmac_f16_e32 v153, v120, v22
	v_sub_f16_e32 v97, v31, v33
	v_sub_f16_e32 v108, v32, v36
	v_add_f16_e32 v112, v96, v31
	v_add_f16_e32 v117, v36, v37
	v_sub_f16_e32 v120, v36, v37
	v_add_f16_e32 v127, v33, v34
	v_sub_f16_e32 v135, v31, v38
	v_sub_f16_e32 v139, v33, v31
	v_add_f16_e32 v31, v31, v38
	v_sub_f16_e32 v146, v36, v32
	v_add_f16_e32 v36, v115, v36
	v_mul_f16_sdwa v144, v116, v42 dst_sel:DWORD dst_unused:UNUSED_PAD src0_sel:DWORD src1_sel:WORD_1
	v_fmac_f16_e32 v138, v111, v51
	v_fmac_f16_e32 v145, v116, v42
	v_add_f16_e32 v116, v124, v128
	v_mul_f16_sdwa v141, v114, v40 dst_sel:DWORD dst_unused:UNUSED_PAD src0_sel:DWORD src1_sel:WORD_1
	v_mul_f16_sdwa v148, v118, v20 dst_sel:DWORD dst_unused:UNUSED_PAD src0_sel:DWORD src1_sel:WORD_1
	;; [unrolled: 1-line block ×5, first 2 shown]
	v_fmac_f16_e32 v136, v110, v50
	v_fmac_f16_e32 v28, v114, v40
	;; [unrolled: 1-line block ×3, first 2 shown]
	v_add_f16_e32 v114, v113, v126
	v_sub_f16_e32 v119, v32, v39
	v_sub_f16_e32 v133, v130, v134
	;; [unrolled: 1-line block ×3, first 2 shown]
	v_add_f16_e32 v32, v32, v39
	v_add_f16_e32 v33, v112, v33
	v_fma_f16 v127, -0.5, v127, v96
	v_fmac_f16_e32 v96, -0.5, v31
	v_add_f16_e32 v36, v36, v37
	v_mul_f16_sdwa v123, v103, v23 dst_sel:DWORD dst_unused:UNUSED_PAD src0_sel:DWORD src1_sel:WORD_1
	v_fma_f16 v99, v99, v41, -v142
	v_sub_f16_e32 v106, v126, v130
	v_add_f16_e32 v129, v130, v134
	v_sub_f16_e32 v131, v126, v138
	v_sub_f16_e32 v142, v130, v126
	v_add_f16_e32 v126, v126, v138
	v_add_f16_e32 v116, v116, v132
	v_mul_f16_sdwa v104, v122, v90 dst_sel:DWORD dst_unused:UNUSED_PAD src0_sel:DWORD src1_sel:WORD_1
	v_fma_f16 v35, v35, v20, -v148
	v_fmac_f16_e32 v149, v118, v20
	v_fmac_f16_e32 v125, v122, v90
	v_sub_f16_e32 v109, v39, v37
	v_add_f16_e32 v118, v132, v136
	v_sub_f16_e32 v122, v132, v136
	v_sub_f16_e32 v148, v37, v39
	v_add_f16_e32 v114, v114, v130
	v_fma_f16 v117, -0.5, v117, v29
	v_fmac_f16_e32 v29, -0.5, v32
	v_add_f16_e32 v33, v33, v34
	v_add_f16_e32 v36, v36, v39
	v_fmamk_f16 v39, v133, 0xbb9c, v96
	v_fmac_f16_e32 v96, 0x3b9c, v133
	v_mul_f16_sdwa v154, v121, v23 dst_sel:DWORD dst_unused:UNUSED_PAD src0_sel:DWORD src1_sel:WORD_1
	v_fma_f16 v98, v98, v42, -v144
	v_fma_f16 v101, v101, v21, -v150
	;; [unrolled: 1-line block ×3, first 2 shown]
	v_fmac_f16_e32 v123, v121, v23
	v_sub_f16_e32 v110, v128, v132
	v_sub_f16_e32 v121, v128, v140
	;; [unrolled: 1-line block ×4, first 2 shown]
	v_add_f16_e32 v128, v128, v140
	v_fma_f16 v129, -0.5, v129, v113
	v_fmac_f16_e32 v113, -0.5, v126
	v_add_f16_e32 v116, v116, v136
	v_fma_f16 v30, v30, v40, -v141
	v_fma_f16 v102, v102, v90, -v104
	v_sub_f16_e32 v104, v38, v34
	v_sub_f16_e32 v141, v34, v38
	v_fma_f16 v118, -0.5, v118, v124
	v_add_f16_e32 v114, v114, v134
	v_add_f16_e32 v33, v33, v38
	v_fmamk_f16 v38, v131, 0x3b9c, v127
	v_fmac_f16_e32 v127, 0xbb9c, v131
	v_fmac_f16_e32 v39, 0x38b4, v131
	;; [unrolled: 1-line block ×3, first 2 shown]
	v_fmamk_f16 v131, v122, 0xbb9c, v29
	v_fmac_f16_e32 v29, 0x3b9c, v122
	v_fma_f16 v103, v103, v23, -v154
	v_sub_f16_e32 v111, v140, v136
	v_sub_f16_e32 v152, v136, v140
	v_add_f16_e32 v142, v142, v144
	v_add_f16_e32 v144, v35, v100
	v_fmac_f16_e32 v124, -0.5, v128
	v_add_f16_e32 v116, v116, v140
	v_fmamk_f16 v140, v137, 0x3b9c, v113
	v_fmac_f16_e32 v113, 0xbb9c, v137
	v_sub_f16_e32 v107, v138, v134
	v_fmamk_f16 v136, v121, 0x3b9c, v117
	v_add_f16_e32 v114, v114, v138
	v_fmamk_f16 v138, v135, 0xbb9c, v129
	v_fmac_f16_e32 v129, 0x3b9c, v135
	v_fmac_f16_e32 v117, 0xbb9c, v121
	;; [unrolled: 1-line block ×4, first 2 shown]
	v_fmamk_f16 v121, v119, 0xbb9c, v118
	v_sub_f16_e32 v154, v99, v105
	v_add_f16_e32 v97, v97, v104
	v_sub_f16_e32 v104, v103, v101
	v_add_f16_e32 v32, v149, v153
	v_add_f16_e32 v150, v150, v152
	v_sub_f16_e32 v152, v145, v125
	v_fma_f16 v144, -0.5, v144, v30
	v_fmac_f16_e32 v140, 0xb8b4, v135
	v_fmac_f16_e32 v113, 0x38b4, v135
	v_fmamk_f16 v135, v120, 0x3b9c, v124
	v_fmac_f16_e32 v124, 0xbb9c, v120
	v_add_f16_e32 v132, v26, v99
	v_add_f16_e32 v139, v139, v141
	;; [unrolled: 1-line block ×3, first 2 shown]
	v_fmac_f16_e32 v118, 0x3b9c, v119
	v_add_f16_e32 v106, v106, v107
	v_add_f16_e32 v108, v108, v109
	;; [unrolled: 1-line block ×3, first 2 shown]
	v_fmac_f16_e32 v38, 0x38b4, v133
	v_fmac_f16_e32 v127, 0xb8b4, v133
	;; [unrolled: 1-line block ×6, first 2 shown]
	v_sub_f16_e32 v111, v98, v35
	v_sub_f16_e32 v112, v102, v100
	v_add_f16_e32 v146, v146, v148
	v_sub_f16_e32 v148, v98, v102
	v_add_f16_e32 v104, v154, v104
	v_sub_f16_e32 v154, v149, v153
	v_fma_f16 v32, -0.5, v32, v28
	v_fmac_f16_e32 v135, 0xb8b4, v119
	v_fmac_f16_e32 v124, 0x38b4, v119
	v_fmamk_f16 v133, v152, 0x3b9c, v144
	v_add_f16_e32 v132, v132, v105
	v_add_f16_e32 v141, v141, v35
	v_fmac_f16_e32 v117, 0xb8b4, v122
	v_fmac_f16_e32 v118, 0x38b4, v120
	v_sub_f16_e32 v107, v143, v147
	v_sub_f16_e32 v109, v123, v151
	v_fmac_f16_e32 v38, 0x34f2, v97
	v_fmac_f16_e32 v127, 0x34f2, v97
	;; [unrolled: 1-line block ×5, first 2 shown]
	v_add_f16_e32 v97, v33, v36
	v_fmac_f16_e32 v121, 0x34f2, v110
	v_add_f16_e32 v106, v114, v116
	v_sub_f16_e32 v130, v145, v149
	v_sub_f16_e32 v115, v125, v153
	;; [unrolled: 1-line block ×3, first 2 shown]
	v_add_f16_e32 v111, v111, v112
	v_fmamk_f16 v119, v148, 0xbb9c, v32
	v_fmac_f16_e32 v133, 0x38b4, v154
	v_fmac_f16_e32 v131, 0x34f2, v146
	;; [unrolled: 1-line block ×5, first 2 shown]
	v_sub_f16_e32 v33, v33, v36
	v_sub_f16_e32 v36, v114, v116
	v_add_f16_e32 v132, v132, v101
	v_add_f16_e32 v141, v141, v100
	v_fmac_f16_e32 v117, 0x34f2, v108
	v_fmac_f16_e32 v118, 0x34f2, v110
	v_add_f16_e32 v107, v107, v109
	v_add_f16_e32 v109, v105, v101
	;; [unrolled: 1-line block ×3, first 2 shown]
	v_mul_f16_e32 v110, 0x38b4, v121
	v_pack_b32_f16 v97, v97, v106
	v_mul_f16_e32 v106, 0xb8b4, v136
	v_add_f16_e32 v115, v130, v115
	v_fmac_f16_e32 v119, 0xb8b4, v128
	v_fmac_f16_e32 v39, 0x34f2, v139
	v_fmac_f16_e32 v96, 0x34f2, v139
	v_fmac_f16_e32 v133, 0x34f2, v111
	v_pack_b32_f16 v33, v33, v36
	v_mul_f16_e32 v36, 0x3b9c, v135
	v_mul_f16_e32 v114, 0xbb9c, v131
	;; [unrolled: 1-line block ×4, first 2 shown]
	v_add_f16_e32 v120, v132, v103
	v_add_f16_e32 v132, v141, v102
	v_fmac_f16_e32 v140, 0x34f2, v142
	v_fmac_f16_e32 v113, 0x34f2, v142
	v_mul_f16_e32 v141, 0xba79, v117
	v_mul_f16_e32 v142, 0xba79, v118
	v_add_f16_e32 v31, v25, v143
	v_add_f16_e32 v126, v28, v145
	v_sub_f16_e32 v112, v143, v123
	v_sub_f16_e32 v134, v99, v103
	v_fma_f16 v109, -0.5, v109, v26
	v_fma_f16 v34, -0.5, v34, v25
	v_fmac_f16_e32 v110, 0x3a79, v136
	v_fmac_f16_e32 v106, 0x3a79, v121
	;; [unrolled: 1-line block ×3, first 2 shown]
	v_mul_f16_e32 v150, 0xb8b4, v133
	v_fmac_f16_e32 v36, 0x34f2, v131
	v_fmac_f16_e32 v114, 0x34f2, v135
	;; [unrolled: 1-line block ×6, first 2 shown]
	v_sub_f16_e32 v130, v147, v151
	v_sub_f16_e32 v37, v105, v101
	v_add_f16_e32 v31, v31, v147
	v_add_f16_e32 v126, v126, v149
	v_fmamk_f16 v122, v112, 0x3b9c, v109
	v_fmamk_f16 v137, v134, 0xbb9c, v34
	v_add_f16_e32 v29, v38, v110
	v_add_f16_e32 v117, v138, v106
	v_mul_f16_e32 v146, 0x38b4, v119
	v_fmac_f16_e32 v150, 0x3a79, v119
	v_add_f16_e32 v118, v39, v36
	v_sub_f16_e32 v38, v38, v110
	v_add_f16_e32 v110, v140, v114
	v_sub_f16_e32 v36, v39, v36
	v_add_f16_e32 v39, v96, v116
	v_add_f16_e32 v119, v113, v139
	;; [unrolled: 1-line block ×3, first 2 shown]
	v_sub_f16_e32 v96, v96, v116
	v_add_f16_e32 v116, v129, v142
	v_sub_f16_e32 v106, v138, v106
	v_sub_f16_e32 v114, v140, v114
	v_add_f16_e32 v31, v31, v151
	v_add_f16_e32 v126, v126, v153
	v_fmac_f16_e32 v122, 0x38b4, v130
	v_fmac_f16_e32 v137, 0xb8b4, v37
	v_pack_b32_f16 v29, v29, v117
	v_pack_b32_f16 v110, v118, v110
	;; [unrolled: 1-line block ×6, first 2 shown]
	v_add_f16_e32 v31, v31, v123
	v_add_f16_e32 v126, v126, v125
	v_fmac_f16_e32 v122, 0x34f2, v104
	v_fmac_f16_e32 v137, 0x34f2, v107
	;; [unrolled: 1-line block ×3, first 2 shown]
	ds_write2_b32 v91, v97, v29 offset1:100
	ds_write2_b32 v93, v110, v39 offset0:72 offset1:172
	ds_write2_b32 v84, v116, v33 offset0:144 offset1:244
	;; [unrolled: 1-line block ×3, first 2 shown]
	v_add_f16_e32 v33, v99, v103
	v_add_f16_e32 v108, v120, v132
	v_sub_f16_e32 v124, v127, v141
	v_sub_f16_e32 v113, v113, v139
	;; [unrolled: 1-line block ×3, first 2 shown]
	v_add_f16_e32 v29, v31, v126
	v_add_f16_e32 v36, v122, v146
	;; [unrolled: 1-line block ×3, first 2 shown]
	v_fmac_f16_e32 v26, -0.5, v33
	v_pack_b32_f16 v106, v96, v113
	v_pack_b32_f16 v113, v124, v127
	v_add_nc_u32_e32 v97, 0xc00, v91
	v_lshlrev_b32_sdwa v96, v24, v27 dst_sel:DWORD dst_unused:UNUSED_PAD src0_sel:DWORD src1_sel:WORD_0
	v_pack_b32_f16 v24, v108, v29
	v_pack_b32_f16 v27, v36, v38
	v_sub_f16_e32 v29, v105, v99
	v_sub_f16_e32 v33, v101, v103
	v_fmamk_f16 v36, v130, 0xbb9c, v26
	v_fmac_f16_e32 v26, 0x3b9c, v130
	ds_write2_b32 v97, v106, v113 offset0:32 offset1:132
	ds_write2_b32 v96, v24, v27 offset1:100
	v_add_f16_e32 v27, v143, v123
	v_add_f16_e32 v24, v29, v33
	v_fmac_f16_e32 v36, 0x38b4, v112
	v_fmac_f16_e32 v26, 0xb8b4, v112
	v_sub_f16_e32 v29, v147, v143
	v_fmac_f16_e32 v25, -0.5, v27
	v_add_f16_e32 v27, v98, v102
	v_fmac_f16_e32 v36, 0x34f2, v24
	v_fmac_f16_e32 v26, 0x34f2, v24
	v_add_f16_e32 v24, v145, v125
	v_sub_f16_e32 v33, v151, v123
	v_fmac_f16_e32 v30, -0.5, v27
	v_sub_f16_e32 v27, v149, v145
	v_sub_f16_e32 v38, v153, v125
	v_fmac_f16_e32 v28, -0.5, v24
	v_add_f16_e32 v29, v29, v33
	v_sub_f16_e32 v33, v35, v98
	v_sub_f16_e32 v35, v100, v102
	v_fmamk_f16 v98, v154, 0xbb9c, v30
	v_fmamk_f16 v39, v128, 0x3b9c, v28
	v_add_f16_e32 v27, v27, v38
	v_fmac_f16_e32 v30, 0x3b9c, v154
	v_add_f16_e32 v33, v33, v35
	v_fmac_f16_e32 v98, 0x38b4, v152
	v_fmac_f16_e32 v39, 0xb8b4, v148
	;; [unrolled: 1-line block ×3, first 2 shown]
	v_fmamk_f16 v24, v37, 0x3b9c, v25
	v_fmac_f16_e32 v25, 0xbb9c, v37
	v_fmac_f16_e32 v98, 0x34f2, v33
	;; [unrolled: 1-line block ×6, first 2 shown]
	v_mul_f16_e32 v38, 0xbb9c, v98
	v_mul_f16_e32 v35, 0x3b9c, v39
	v_fmac_f16_e32 v144, 0xbb9c, v152
	v_fmac_f16_e32 v32, 0x3b9c, v148
	v_fmac_f16_e32 v25, 0x38b4, v134
	v_fmac_f16_e32 v30, 0x34f2, v33
	v_fmac_f16_e32 v28, 0x34f2, v27
	v_fmac_f16_e32 v24, 0x34f2, v29
	v_fmac_f16_e32 v35, 0x34f2, v98
	v_fmac_f16_e32 v38, 0x34f2, v39
	v_fmac_f16_e32 v144, 0xb8b4, v154
	v_fmac_f16_e32 v32, 0x38b4, v128
	v_fmac_f16_e32 v25, 0x34f2, v29
	v_mul_f16_e32 v27, 0xb4f2, v30
	v_mul_f16_e32 v29, 0xb4f2, v28
	v_add_f16_e32 v33, v36, v35
	v_add_f16_e32 v39, v24, v38
	v_fmac_f16_e32 v109, 0xbb9c, v112
	v_fmac_f16_e32 v34, 0x3b9c, v134
	;; [unrolled: 1-line block ×6, first 2 shown]
	v_pack_b32_f16 v30, v33, v39
	v_fmac_f16_e32 v109, 0xb8b4, v130
	v_fmac_f16_e32 v34, 0x38b4, v37
	v_mul_f16_e32 v37, 0xba79, v144
	v_mul_f16_e32 v39, 0xba79, v32
	v_add_f16_e32 v28, v26, v27
	v_add_f16_e32 v33, v25, v29
	v_fmac_f16_e32 v109, 0x34f2, v104
	v_fmac_f16_e32 v34, 0x34f2, v107
	;; [unrolled: 1-line block ×4, first 2 shown]
	v_pack_b32_f16 v33, v28, v33
	v_sub_f16_e32 v28, v120, v132
	v_sub_f16_e32 v31, v31, v126
	v_add_f16_e32 v32, v109, v37
	v_add_f16_e32 v99, v34, v39
	v_sub_f16_e32 v101, v122, v146
	v_sub_f16_e32 v35, v36, v35
	;; [unrolled: 1-line block ×4, first 2 shown]
	v_pack_b32_f16 v31, v28, v31
	v_sub_f16_e32 v25, v25, v29
	v_mad_u64_u32 v[28:29], null, v71, 36, s[2:3]
	v_add_nc_u32_e32 v98, 0x200, v96
	v_pack_b32_f16 v32, v32, v99
	v_add_nc_u32_e32 v100, 0x400, v96
	v_pack_b32_f16 v36, v101, v36
	v_pack_b32_f16 v24, v35, v24
	v_add_nc_u32_e32 v101, 0x800, v96
	v_sub_f16_e32 v26, v26, v27
	v_sub_f16_e32 v27, v109, v37
	;; [unrolled: 1-line block ×3, first 2 shown]
	ds_write2_b32 v98, v30, v33 offset0:72 offset1:172
	ds_write2_b32 v100, v32, v31 offset0:144 offset1:244
	;; [unrolled: 1-line block ×3, first 2 shown]
	v_add_co_u32 v30, vcc_lo, 0x800, v28
	v_pack_b32_f16 v24, v26, v25
	v_pack_b32_f16 v25, v27, v34
	v_add_nc_u32_e32 v103, 0xc00, v96
	v_add_co_ci_u32_e32 v31, vcc_lo, 0, v29, vcc_lo
	v_add_co_u32 v104, vcc_lo, 0x5000, v28
	ds_write2_b32 v103, v24, v25 offset0:32 offset1:132
	s_waitcnt lgkmcnt(0)
	s_barrier
	buffer_gl0_inv
	s_clause 0x1
	global_load_dwordx4 v[32:35], v[30:31], off offset:1936
	global_load_dwordx4 v[24:27], v[30:31], off offset:1952
	v_add_co_ci_u32_e32 v105, vcc_lo, 0, v29, vcc_lo
	s_clause 0x3
	global_load_dword v99, v[30:31], off offset:1968
	global_load_dwordx4 v[28:31], v[104:105], off offset:1504
	global_load_dwordx4 v[36:39], v[104:105], off offset:1520
	global_load_dword v102, v[104:105], off offset:1536
	ds_read_b32 v105, v67 offset:4000
	ds_read_b32 v107, v67 offset:12000
	;; [unrolled: 1-line block ×17, first 2 shown]
	ds_read_b32 v106, v67
	ds_read_b32 v104, v67 offset:2000
	ds_read_b32 v123, v67 offset:34000
	s_waitcnt lgkmcnt(19)
	v_lshrrev_b32_e32 v124, 16, v105
	s_waitcnt lgkmcnt(18)
	v_lshrrev_b32_e32 v126, 16, v107
	;; [unrolled: 2-line block ×18, first 2 shown]
	s_mov_b32 s2, 0xeb1c432d
	s_waitcnt lgkmcnt(0)
	v_lshrrev_b32_e32 v140, 16, v123
	s_mov_b32 s3, 0x3f1a36e2
	s_waitcnt vmcnt(5)
	v_mul_f16_sdwa v144, v105, v32 dst_sel:DWORD dst_unused:UNUSED_PAD src0_sel:DWORD src1_sel:WORD_1
	v_mul_f16_sdwa v145, v125, v33 dst_sel:DWORD dst_unused:UNUSED_PAD src0_sel:DWORD src1_sel:WORD_1
	;; [unrolled: 1-line block ×8, first 2 shown]
	s_waitcnt vmcnt(4)
	v_mul_f16_sdwa v152, v109, v24 dst_sel:DWORD dst_unused:UNUSED_PAD src0_sel:DWORD src1_sel:WORD_1
	v_mul_f16_sdwa v153, v129, v25 dst_sel:DWORD dst_unused:UNUSED_PAD src0_sel:DWORD src1_sel:WORD_1
	;; [unrolled: 1-line block ×3, first 2 shown]
	v_fmac_f16_e32 v144, v124, v32
	v_mul_f16_sdwa v124, v112, v26 dst_sel:DWORD dst_unused:UNUSED_PAD src0_sel:DWORD src1_sel:WORD_1
	v_fma_f16 v110, v110, v33, -v145
	v_mul_f16_sdwa v145, v131, v27 dst_sel:DWORD dst_unused:UNUSED_PAD src0_sel:DWORD src1_sel:WORD_1
	v_fmac_f16_e32 v146, v125, v33
	v_mul_f16_sdwa v125, v113, v27 dst_sel:DWORD dst_unused:UNUSED_PAD src0_sel:DWORD src1_sel:WORD_1
	v_fma_f16 v147, v107, v34, -v147
	s_waitcnt vmcnt(3)
	v_mul_f16_sdwa v107, v132, v99 dst_sel:DWORD dst_unused:UNUSED_PAD src0_sel:DWORD src1_sel:WORD_1
	v_fma_f16 v108, v108, v35, -v149
	s_waitcnt vmcnt(2)
	v_mul_f16_sdwa v149, v133, v28 dst_sel:DWORD dst_unused:UNUSED_PAD src0_sel:DWORD src1_sel:WORD_1
	v_fmac_f16_e32 v150, v127, v35
	v_mul_f16_sdwa v127, v134, v29 dst_sel:DWORD dst_unused:UNUSED_PAD src0_sel:DWORD src1_sel:WORD_1
	v_mul_f16_sdwa v151, v128, v24 dst_sel:DWORD dst_unused:UNUSED_PAD src0_sel:DWORD src1_sel:WORD_1
	v_fma_f16 v143, v105, v32, -v143
	v_mul_f16_sdwa v155, v130, v26 dst_sel:DWORD dst_unused:UNUSED_PAD src0_sel:DWORD src1_sel:WORD_1
	v_fmac_f16_e32 v148, v126, v34
	v_mul_f16_sdwa v126, v114, v99 dst_sel:DWORD dst_unused:UNUSED_PAD src0_sel:DWORD src1_sel:WORD_1
	v_mul_f16_sdwa v105, v115, v28 dst_sel:DWORD dst_unused:UNUSED_PAD src0_sel:DWORD src1_sel:WORD_1
	v_fmac_f16_e32 v152, v128, v24
	v_mul_f16_sdwa v128, v119, v29 dst_sel:DWORD dst_unused:UNUSED_PAD src0_sel:DWORD src1_sel:WORD_1
	v_fma_f16 v111, v111, v25, -v153
	v_fmac_f16_e32 v154, v129, v25
	v_mul_f16_sdwa v129, v118, v30 dst_sel:DWORD dst_unused:UNUSED_PAD src0_sel:DWORD src1_sel:WORD_1
	v_fmac_f16_e32 v124, v130, v26
	v_mul_f16_sdwa v130, v117, v31 dst_sel:DWORD dst_unused:UNUSED_PAD src0_sel:DWORD src1_sel:WORD_1
	v_fma_f16 v113, v113, v27, -v145
	v_fmac_f16_e32 v125, v131, v27
	s_waitcnt vmcnt(1)
	v_mul_f16_sdwa v131, v116, v36 dst_sel:DWORD dst_unused:UNUSED_PAD src0_sel:DWORD src1_sel:WORD_1
	v_fma_f16 v114, v114, v99, -v107
	v_fma_f16 v107, v115, v28, -v149
	v_mul_f16_sdwa v115, v139, v38 dst_sel:DWORD dst_unused:UNUSED_PAD src0_sel:DWORD src1_sel:WORD_1
	v_fma_f16 v119, v119, v29, -v127
	v_mul_f16_sdwa v127, v140, v39 dst_sel:DWORD dst_unused:UNUSED_PAD src0_sel:DWORD src1_sel:WORD_1
	;; [unrolled: 2-line block ×3, first 2 shown]
	v_mul_f16_sdwa v153, v136, v31 dst_sel:DWORD dst_unused:UNUSED_PAD src0_sel:DWORD src1_sel:WORD_1
	v_mul_f16_sdwa v145, v137, v36 dst_sel:DWORD dst_unused:UNUSED_PAD src0_sel:DWORD src1_sel:WORD_1
	v_fmac_f16_e32 v126, v132, v99
	v_mul_f16_sdwa v132, v121, v37 dst_sel:DWORD dst_unused:UNUSED_PAD src0_sel:DWORD src1_sel:WORD_1
	v_fmac_f16_e32 v105, v133, v28
	;; [unrolled: 2-line block ×3, first 2 shown]
	v_mul_f16_sdwa v134, v123, v39 dst_sel:DWORD dst_unused:UNUSED_PAD src0_sel:DWORD src1_sel:WORD_1
	s_waitcnt vmcnt(0)
	v_mul_f16_sdwa v149, v141, v102 dst_sel:DWORD dst_unused:UNUSED_PAD src0_sel:DWORD src1_sel:WORD_1
	v_fmac_f16_e32 v129, v135, v30
	v_mul_f16_sdwa v135, v122, v102 dst_sel:DWORD dst_unused:UNUSED_PAD src0_sel:DWORD src1_sel:WORD_1
	v_fmac_f16_e32 v130, v136, v31
	v_fmac_f16_e32 v131, v137, v36
	v_fma_f16 v115, v120, v38, -v115
	v_fma_f16 v120, v123, v39, -v127
	v_sub_f16_e32 v123, v110, v108
	v_sub_f16_e32 v127, v113, v111
	v_add_f16_e32 v136, v108, v111
	v_add_f16_e32 v137, v110, v113
	v_fma_f16 v112, v112, v26, -v155
	v_mul_f16_sdwa v155, v138, v37 dst_sel:DWORD dst_unused:UNUSED_PAD src0_sel:DWORD src1_sel:WORD_1
	v_fma_f16 v118, v118, v30, -v151
	v_fma_f16 v116, v116, v36, -v145
	v_fmac_f16_e32 v132, v138, v37
	v_fmac_f16_e32 v133, v139, v38
	;; [unrolled: 1-line block ×3, first 2 shown]
	v_fma_f16 v122, v122, v102, -v149
	v_fmac_f16_e32 v135, v141, v102
	v_sub_f16_e32 v138, v108, v110
	v_sub_f16_e32 v139, v111, v113
	v_add_f16_e32 v140, v106, v110
	v_sub_f16_e32 v141, v146, v150
	v_sub_f16_e32 v145, v125, v154
	v_add_f16_e32 v149, v150, v154
	v_add_f16_e32 v151, v146, v125
	;; [unrolled: 1-line block ×3, first 2 shown]
	v_sub_f16_e32 v127, v150, v146
	v_fma_f16 v136, -0.5, v136, v106
	v_fmac_f16_e32 v106, -0.5, v137
	v_sub_f16_e32 v137, v154, v125
	v_fma_f16 v117, v117, v31, -v153
	v_add_f16_e32 v153, v142, v146
	v_add_f16_e32 v138, v138, v139
	v_sub_f16_e32 v139, v147, v109
	v_add_f16_e32 v141, v141, v145
	v_sub_f16_e32 v145, v114, v112
	v_fma_f16 v149, -0.5, v149, v142
	v_fmac_f16_e32 v142, -0.5, v151
	v_add_f16_e32 v151, v109, v112
	v_add_f16_e32 v127, v127, v137
	;; [unrolled: 1-line block ×3, first 2 shown]
	v_fma_f16 v121, v121, v37, -v155
	v_add_f16_e32 v139, v139, v145
	v_add_f16_e32 v145, v143, v147
	v_fma_f16 v151, -0.5, v151, v143
	v_fmac_f16_e32 v143, -0.5, v137
	v_sub_f16_e32 v137, v109, v147
	v_sub_f16_e32 v155, v112, v114
	v_add_f16_e32 v140, v140, v108
	v_sub_f16_e32 v156, v126, v124
	v_add_f16_e32 v158, v144, v148
	;; [unrolled: 2-line block ×4, first 2 shown]
	v_add_f16_e32 v140, v153, v150
	v_add_f16_e32 v145, v145, v109
	;; [unrolled: 1-line block ×5, first 2 shown]
	v_sub_f16_e32 v150, v150, v154
	v_add_f16_e32 v140, v140, v154
	v_sub_f16_e32 v109, v109, v112
	v_add_f16_e32 v112, v145, v112
	v_add_f16_e32 v145, v158, v152
	v_fma_f16 v156, -0.5, v156, v144
	v_fmac_f16_e32 v144, -0.5, v157
	v_sub_f16_e32 v157, v152, v148
	v_sub_f16_e32 v159, v124, v126
	;; [unrolled: 1-line block ×3, first 2 shown]
	v_add_f16_e32 v124, v145, v124
	v_sub_f16_e32 v145, v146, v125
	v_sub_f16_e32 v110, v110, v113
	v_fmamk_f16 v146, v150, 0xbb9c, v106
	v_fmac_f16_e32 v106, 0x3b9c, v150
	v_sub_f16_e32 v147, v147, v114
	v_add_f16_e32 v125, v140, v125
	v_fmamk_f16 v140, v108, 0x3b9c, v142
	v_fmac_f16_e32 v142, 0xbb9c, v108
	v_add_f16_e32 v111, v111, v113
	v_fmamk_f16 v113, v145, 0x3b9c, v136
	v_fmac_f16_e32 v136, 0xbb9c, v145
	v_sub_f16_e32 v148, v148, v126
	v_fmac_f16_e32 v146, 0x38b4, v145
	v_fmac_f16_e32 v106, 0xb8b4, v145
	v_fmamk_f16 v145, v110, 0xbb9c, v149
	v_fmac_f16_e32 v149, 0x3b9c, v110
	v_fmac_f16_e32 v140, 0xb8b4, v110
	;; [unrolled: 1-line block ×3, first 2 shown]
	v_fmamk_f16 v110, v152, 0xbb9c, v143
	v_add_f16_e32 v112, v112, v114
	v_fmamk_f16 v114, v147, 0xbb9c, v156
	v_fmac_f16_e32 v113, 0x38b4, v150
	v_fmac_f16_e32 v136, 0xb8b4, v150
	;; [unrolled: 1-line block ×4, first 2 shown]
	v_fmamk_f16 v108, v148, 0x3b9c, v151
	v_fmac_f16_e32 v151, 0xbb9c, v148
	v_fmac_f16_e32 v143, 0x3b9c, v152
	v_fmamk_f16 v150, v109, 0x3b9c, v144
	v_fmac_f16_e32 v144, 0xbb9c, v109
	v_fmac_f16_e32 v110, 0x38b4, v148
	;; [unrolled: 1-line block ×3, first 2 shown]
	v_add_f16_e32 v157, v157, v159
	v_fmac_f16_e32 v156, 0x3b9c, v147
	v_fmac_f16_e32 v108, 0x38b4, v152
	v_fmac_f16_e32 v151, 0xb8b4, v152
	v_fmac_f16_e32 v143, 0xb8b4, v148
	v_fmac_f16_e32 v150, 0xb8b4, v147
	v_fmac_f16_e32 v144, 0x38b4, v147
	v_fmac_f16_e32 v110, 0x34f2, v137
	v_fmac_f16_e32 v114, 0x34f2, v155
	v_fmac_f16_e32 v156, 0x38b4, v109
	v_fmac_f16_e32 v140, 0x34f2, v127
	v_fmac_f16_e32 v142, 0x34f2, v127
	v_fmac_f16_e32 v108, 0x34f2, v139
	v_fmac_f16_e32 v151, 0x34f2, v139
	v_fmac_f16_e32 v143, 0x34f2, v137
	v_fmac_f16_e32 v150, 0x34f2, v157
	v_fmac_f16_e32 v144, 0x34f2, v157
	v_mul_f16_e32 v109, 0x38b4, v114
	v_mul_f16_e32 v127, 0xbb9c, v110
	v_add_f16_e32 v124, v124, v126
	v_fmac_f16_e32 v113, 0x34f2, v123
	v_fmac_f16_e32 v136, 0x34f2, v123
	v_fmac_f16_e32 v146, 0x34f2, v138
	v_fmac_f16_e32 v106, 0x34f2, v138
	v_fmac_f16_e32 v156, 0x34f2, v155
	v_mul_f16_e32 v123, 0xb8b4, v108
	v_mul_f16_e32 v126, 0x3b9c, v150
	;; [unrolled: 1-line block ×4, first 2 shown]
	v_fmac_f16_e32 v109, 0x3a79, v108
	v_mul_f16_e32 v108, 0xba79, v151
	v_fmac_f16_e32 v127, 0x34f2, v150
	v_fmac_f16_e32 v145, 0x34f2, v141
	;; [unrolled: 1-line block ×8, first 2 shown]
	v_add_f16_e32 v141, v140, v127
	v_sub_f16_e32 v127, v140, v127
	v_add_f16_e32 v140, v117, v121
	v_add_f16_e32 v114, v111, v112
	v_sub_f16_e32 v111, v111, v112
	v_add_f16_e32 v112, v113, v109
	v_sub_f16_e32 v109, v113, v109
	;; [unrolled: 2-line block ×7, first 2 shown]
	v_sub_f16_e32 v143, v119, v117
	v_sub_f16_e32 v144, v120, v121
	v_add_f16_e32 v145, v142, v138
	v_sub_f16_e32 v138, v142, v138
	v_fma_f16 v140, -0.5, v140, v104
	v_sub_f16_e32 v142, v128, v134
	v_add_f16_e32 v146, v119, v120
	v_add_f16_e32 v147, v104, v119
	v_mul_f16_e32 v110, 0xba79, v156
	v_add_f16_e32 v143, v143, v144
	v_lshrrev_b32_e32 v144, 16, v104
	v_fmamk_f16 v148, v142, 0x3b9c, v140
	v_sub_f16_e32 v150, v130, v132
	v_fmac_f16_e32 v104, -0.5, v146
	v_fmac_f16_e32 v140, 0xbb9c, v142
	v_add_f16_e32 v147, v147, v117
	v_fmac_f16_e32 v110, 0xb8b4, v151
	v_sub_f16_e32 v146, v117, v119
	v_sub_f16_e32 v151, v121, v120
	v_fmac_f16_e32 v148, 0x38b4, v150
	v_fmamk_f16 v152, v150, 0xbb9c, v104
	v_fmac_f16_e32 v104, 0x3b9c, v150
	v_fmac_f16_e32 v140, 0xb8b4, v150
	v_add_f16_e32 v147, v147, v121
	v_add_f16_e32 v146, v146, v151
	v_fmac_f16_e32 v152, 0x38b4, v142
	v_fmac_f16_e32 v104, 0xb8b4, v142
	;; [unrolled: 1-line block ×4, first 2 shown]
	v_add_f16_e32 v143, v147, v120
	v_add_f16_e32 v147, v130, v132
	;; [unrolled: 1-line block ×3, first 2 shown]
	v_sub_f16_e32 v110, v149, v110
	v_fmac_f16_e32 v152, 0x34f2, v146
	v_fmac_f16_e32 v104, 0x34f2, v146
	v_add_f16_e32 v146, v144, v128
	v_sub_f16_e32 v119, v119, v120
	v_sub_f16_e32 v120, v128, v130
	;; [unrolled: 1-line block ×3, first 2 shown]
	v_fma_f16 v147, -0.5, v147, v144
	v_sub_f16_e32 v117, v117, v121
	v_add_f16_e32 v121, v128, v134
	v_add_f16_e32 v146, v146, v130
	;; [unrolled: 1-line block ×3, first 2 shown]
	v_fmamk_f16 v149, v119, 0xbb9c, v147
	v_fmac_f16_e32 v147, 0x3b9c, v119
	v_fmac_f16_e32 v144, -0.5, v121
	v_add_f16_e32 v146, v146, v132
	v_sub_f16_e32 v121, v130, v128
	v_fmac_f16_e32 v149, 0xb8b4, v117
	v_fmac_f16_e32 v147, 0x38b4, v117
	v_sub_f16_e32 v130, v132, v134
	v_fmamk_f16 v132, v117, 0x3b9c, v144
	v_fmac_f16_e32 v144, 0xbb9c, v117
	v_add_f16_e32 v117, v116, v115
	v_add_f16_e32 v128, v146, v134
	v_fmac_f16_e32 v149, 0x34f2, v120
	v_fmac_f16_e32 v147, 0x34f2, v120
	v_add_f16_e32 v120, v121, v130
	v_sub_f16_e32 v121, v118, v116
	v_sub_f16_e32 v130, v122, v115
	v_fmac_f16_e32 v132, 0xb8b4, v119
	v_fma_f16 v117, -0.5, v117, v107
	v_sub_f16_e32 v134, v129, v135
	v_fmac_f16_e32 v144, 0x38b4, v119
	v_add_f16_e32 v119, v118, v122
	v_add_f16_e32 v121, v121, v130
	;; [unrolled: 1-line block ×3, first 2 shown]
	v_fmamk_f16 v146, v134, 0x3b9c, v117
	v_sub_f16_e32 v150, v131, v133
	v_fmac_f16_e32 v107, -0.5, v119
	v_fmac_f16_e32 v117, 0xbb9c, v134
	v_sub_f16_e32 v119, v116, v118
	v_sub_f16_e32 v151, v115, v122
	v_fmac_f16_e32 v146, 0x38b4, v150
	v_fmamk_f16 v153, v150, 0xbb9c, v107
	v_fmac_f16_e32 v107, 0x3b9c, v150
	v_fmac_f16_e32 v117, 0xb8b4, v150
	v_add_f16_e32 v130, v130, v116
	v_add_f16_e32 v119, v119, v151
	v_fmac_f16_e32 v153, 0x38b4, v134
	v_fmac_f16_e32 v107, 0xb8b4, v134
	;; [unrolled: 1-line block ×4, first 2 shown]
	v_add_f16_e32 v120, v130, v115
	v_fmac_f16_e32 v146, 0x34f2, v121
	v_fmac_f16_e32 v117, 0x34f2, v121
	v_add_f16_e32 v121, v131, v133
	v_add_f16_e32 v130, v129, v135
	v_fmac_f16_e32 v153, 0x34f2, v119
	v_fmac_f16_e32 v107, 0x34f2, v119
	v_add_f16_e32 v119, v120, v122
	v_sub_f16_e32 v118, v118, v122
	v_sub_f16_e32 v120, v129, v131
	v_sub_f16_e32 v122, v135, v133
	v_add_f16_e32 v134, v105, v129
	v_sub_f16_e32 v115, v116, v115
	v_fma_f16 v116, -0.5, v121, v105
	v_fmac_f16_e32 v105, -0.5, v130
	v_add_f16_e32 v120, v120, v122
	v_add_f16_e32 v121, v134, v131
	v_sub_f16_e32 v122, v131, v129
	v_fmamk_f16 v129, v118, 0xbb9c, v116
	v_sub_f16_e32 v130, v133, v135
	v_fmamk_f16 v131, v115, 0x3b9c, v105
	v_fmac_f16_e32 v116, 0x3b9c, v118
	v_fmac_f16_e32 v105, 0xbb9c, v115
	;; [unrolled: 1-line block ×3, first 2 shown]
	v_add_f16_e32 v122, v122, v130
	v_fmac_f16_e32 v131, 0xb8b4, v118
	v_fmac_f16_e32 v116, 0x38b4, v115
	;; [unrolled: 1-line block ×3, first 2 shown]
	v_add_f16_e32 v121, v121, v133
	v_fmac_f16_e32 v129, 0x34f2, v120
	v_fmac_f16_e32 v131, 0x34f2, v122
	;; [unrolled: 1-line block ×3, first 2 shown]
	v_mul_f16_e32 v120, 0xb8b4, v146
	v_fmac_f16_e32 v105, 0x34f2, v122
	v_add_f16_e32 v115, v121, v135
	v_mul_f16_e32 v118, 0x38b4, v129
	v_mul_f16_e32 v121, 0x3b9c, v131
	v_fmac_f16_e32 v120, 0x3a79, v129
	v_mul_f16_e32 v129, 0xb4f2, v107
	v_mul_f16_e32 v133, 0xba79, v117
	;; [unrolled: 1-line block ×5, first 2 shown]
	v_fmac_f16_e32 v118, 0x3a79, v146
	v_fmac_f16_e32 v121, 0x34f2, v153
	;; [unrolled: 1-line block ×6, first 2 shown]
	v_pack_b32_f16 v114, v114, v136
	v_fmac_f16_e32 v134, 0xb8b4, v117
	v_pack_b32_f16 v112, v112, v125
	v_add_f16_e32 v105, v143, v119
	v_sub_f16_e32 v107, v143, v119
	v_add_f16_e32 v116, v148, v118
	v_sub_f16_e32 v117, v148, v118
	;; [unrolled: 2-line block ×5, first 2 shown]
	v_add_f16_e32 v133, v128, v115
	v_pack_b32_f16 v113, v113, v141
	v_sub_f16_e32 v115, v128, v115
	v_add_f16_e32 v128, v149, v120
	v_pack_b32_f16 v125, v139, v145
	v_pack_b32_f16 v111, v111, v124
	v_add_f16_e32 v135, v132, v122
	v_pack_b32_f16 v136, v137, v142
	v_pack_b32_f16 v109, v109, v123
	v_sub_f16_e32 v122, v132, v122
	v_add_f16_e32 v132, v144, v130
	ds_write_b32 v67, v114
	ds_write_b32 v67, v112 offset:4000
	ds_write_b32 v67, v113 offset:8000
	;; [unrolled: 1-line block ×4, first 2 shown]
	v_pack_b32_f16 v112, v126, v127
	v_add_f16_e32 v140, v147, v134
	v_pack_b32_f16 v106, v106, v138
	v_pack_b32_f16 v108, v108, v110
	;; [unrolled: 1-line block ×3, first 2 shown]
	v_sub_f16_e32 v120, v149, v120
	ds_write_b32 v67, v111 offset:20000
	ds_write_b32 v67, v109 offset:24000
	;; [unrolled: 1-line block ×5, first 2 shown]
	v_pack_b32_f16 v106, v116, v128
	v_pack_b32_f16 v108, v118, v135
	v_sub_f16_e32 v130, v144, v130
	v_pack_b32_f16 v109, v121, v132
	v_pack_b32_f16 v110, v129, v140
	ds_write_b32 v67, v105 offset:2000
	ds_write_b32 v67, v106 offset:6000
	;; [unrolled: 1-line block ×5, first 2 shown]
	v_pack_b32_f16 v105, v107, v115
	v_sub_f16_e32 v134, v147, v134
	v_pack_b32_f16 v106, v117, v120
	v_pack_b32_f16 v107, v119, v122
	;; [unrolled: 1-line block ×3, first 2 shown]
	ds_write_b32 v67, v105 offset:22000
	ds_write_b32 v67, v106 offset:26000
	;; [unrolled: 1-line block ×4, first 2 shown]
	v_add_co_u32 v104, vcc_lo, 0x9800, v75
	v_pack_b32_f16 v108, v131, v134
	v_add_co_ci_u32_e32 v105, vcc_lo, 0, v76, vcc_lo
	v_add_co_u32 v106, vcc_lo, 0xc000, v75
	v_add_co_ci_u32_e32 v107, vcc_lo, 0, v76, vcc_lo
	ds_write_b32 v67, v108 offset:38000
	v_add_co_u32 v108, vcc_lo, 0xe800, v75
	v_add_co_ci_u32_e32 v109, vcc_lo, 0, v76, vcc_lo
	v_add_co_u32 v110, vcc_lo, 0x11000, v75
	v_add_co_ci_u32_e32 v111, vcc_lo, 0, v76, vcc_lo
	s_waitcnt lgkmcnt(0)
	s_barrier
	buffer_gl0_inv
	s_clause 0x3
	global_load_dword v112, v[104:105], off offset:1088
	global_load_dword v113, v[106:107], off offset:848
	;; [unrolled: 1-line block ×4, first 2 shown]
	v_add_co_u32 v104, vcc_lo, 0xc800, v75
	v_add_co_ci_u32_e32 v105, vcc_lo, 0, v76, vcc_lo
	v_add_co_u32 v106, vcc_lo, 0xf000, v75
	v_add_co_ci_u32_e32 v107, vcc_lo, 0, v76, vcc_lo
	;; [unrolled: 2-line block ×4, first 2 shown]
	s_clause 0x3
	global_load_dword v116, v[104:105], off offset:800
	global_load_dword v117, v[106:107], off offset:560
	;; [unrolled: 1-line block ×4, first 2 shown]
	v_add_co_u32 v104, vcc_lo, 0xa800, v75
	v_add_co_ci_u32_e32 v105, vcc_lo, 0, v76, vcc_lo
	v_add_co_u32 v106, vcc_lo, 0xd000, v75
	v_add_co_ci_u32_e32 v107, vcc_lo, 0, v76, vcc_lo
	s_clause 0x1
	global_load_dword v111, v[104:105], off offset:992
	global_load_dword v119, v[106:107], off offset:752
	v_add_co_u32 v104, vcc_lo, 0xf800, v75
	v_add_co_ci_u32_e32 v105, vcc_lo, 0, v76, vcc_lo
	v_add_co_u32 v106, vcc_lo, 0x12000, v75
	v_add_co_ci_u32_e32 v107, vcc_lo, 0, v76, vcc_lo
	s_clause 0x1
	global_load_dword v120, v[104:105], off offset:512
	global_load_dword v121, v[106:107], off offset:272
	;; [unrolled: 7-line block ×3, first 2 shown]
	v_add_co_u32 v108, vcc_lo, 0x10000, v75
	v_add_co_ci_u32_e32 v109, vcc_lo, 0, v76, vcc_lo
	v_add_co_u32 v104, vcc_lo, 0x12800, v75
	v_add_co_ci_u32_e32 v105, vcc_lo, 0, v76, vcc_lo
	v_add_co_u32 v106, vcc_lo, 0xb800, v75
	global_load_dword v124, v[108:109], off offset:464
	v_add_co_ci_u32_e32 v107, vcc_lo, 0, v76, vcc_lo
	v_add_co_u32 v108, vcc_lo, 0xe000, v75
	v_add_co_ci_u32_e32 v109, vcc_lo, 0, v76, vcc_lo
	s_clause 0x2
	global_load_dword v125, v[104:105], off offset:224
	global_load_dword v106, v[106:107], off offset:896
	global_load_dword v107, v[108:109], off offset:656
	v_add_co_u32 v104, vcc_lo, 0x10800, v75
	v_add_co_ci_u32_e32 v105, vcc_lo, 0, v76, vcc_lo
	v_add_co_u32 v75, vcc_lo, 0x13000, v75
	v_add_co_ci_u32_e32 v76, vcc_lo, 0, v76, vcc_lo
	s_clause 0x1
	global_load_dword v104, v[104:105], off offset:416
	global_load_dword v75, v[75:76], off offset:176
	ds_read_b32 v76, v67
	ds_read_b32 v105, v67 offset:10000
	ds_read_b32 v108, v67 offset:20000
	;; [unrolled: 1-line block ×14, first 2 shown]
	s_waitcnt lgkmcnt(14)
	v_lshrrev_b32_e32 v131, 16, v76
	s_waitcnt lgkmcnt(13)
	v_lshrrev_b32_e32 v138, 16, v105
	;; [unrolled: 2-line block ×4, first 2 shown]
	v_lshrrev_b32_e32 v144, 16, v129
	v_lshrrev_b32_e32 v148, 16, v130
	s_waitcnt vmcnt(19)
	v_mul_f16_sdwa v139, v131, v112 dst_sel:DWORD dst_unused:UNUSED_PAD src0_sel:DWORD src1_sel:WORD_1
	v_mul_f16_sdwa v140, v76, v112 dst_sel:DWORD dst_unused:UNUSED_PAD src0_sel:DWORD src1_sel:WORD_1
	s_waitcnt vmcnt(18)
	v_mul_f16_sdwa v142, v138, v113 dst_sel:DWORD dst_unused:UNUSED_PAD src0_sel:DWORD src1_sel:WORD_1
	v_fma_f16 v76, v76, v112, -v139
	ds_read_b32 v139, v67 offset:32000
	ds_read_b32 v143, v67 offset:28000
	v_fmac_f16_e32 v140, v131, v112
	v_mul_f16_sdwa v112, v105, v113 dst_sel:DWORD dst_unused:UNUSED_PAD src0_sel:DWORD src1_sel:WORD_1
	s_waitcnt vmcnt(17)
	v_mul_f16_sdwa v131, v141, v114 dst_sel:DWORD dst_unused:UNUSED_PAD src0_sel:DWORD src1_sel:WORD_1
	v_fma_f16 v105, v105, v113, -v142
	v_mul_f16_sdwa v142, v108, v114 dst_sel:DWORD dst_unused:UNUSED_PAD src0_sel:DWORD src1_sel:WORD_1
	ds_read_b32 v146, v67 offset:36000
	v_fmac_f16_e32 v112, v138, v113
	v_fma_f16 v108, v108, v114, -v131
	s_waitcnt vmcnt(16)
	v_mul_f16_sdwa v113, v144, v115 dst_sel:DWORD dst_unused:UNUSED_PAD src0_sel:DWORD src1_sel:WORD_1
	v_mul_f16_sdwa v131, v129, v115 dst_sel:DWORD dst_unused:UNUSED_PAD src0_sel:DWORD src1_sel:WORD_1
	v_lshrrev_b32_e32 v138, 16, v109
	v_fmac_f16_e32 v142, v141, v114
	s_waitcnt lgkmcnt(6)
	v_lshrrev_b32_e32 v114, 16, v134
	v_fma_f16 v113, v129, v115, -v113
	v_fmac_f16_e32 v131, v144, v115
	s_waitcnt vmcnt(12)
	v_mul_f16_sdwa v115, v138, v110 dst_sel:DWORD dst_unused:UNUSED_PAD src0_sel:DWORD src1_sel:WORD_1
	v_mul_f16_sdwa v129, v109, v110 dst_sel:DWORD dst_unused:UNUSED_PAD src0_sel:DWORD src1_sel:WORD_1
	;; [unrolled: 1-line block ×4, first 2 shown]
	v_fma_f16 v109, v109, v110, -v115
	v_fmac_f16_e32 v129, v138, v110
	v_fma_f16 v110, v134, v116, -v141
	v_fmac_f16_e32 v144, v114, v116
	v_mul_f16_sdwa v114, v145, v117 dst_sel:DWORD dst_unused:UNUSED_PAD src0_sel:DWORD src1_sel:WORD_1
	s_waitcnt lgkmcnt(2)
	v_lshrrev_b32_e32 v115, 16, v139
	ds_read_b32 v116, v67 offset:34000
	v_mul_f16_sdwa v134, v132, v117 dst_sel:DWORD dst_unused:UNUSED_PAD src0_sel:DWORD src1_sel:WORD_1
	v_lshrrev_b32_e32 v138, 16, v126
	v_fma_f16 v114, v132, v117, -v114
	v_mul_f16_sdwa v132, v115, v118 dst_sel:DWORD dst_unused:UNUSED_PAD src0_sel:DWORD src1_sel:WORD_1
	v_mul_f16_sdwa v141, v139, v118 dst_sel:DWORD dst_unused:UNUSED_PAD src0_sel:DWORD src1_sel:WORD_1
	v_fmac_f16_e32 v134, v145, v117
	s_waitcnt vmcnt(11)
	v_mul_f16_sdwa v117, v138, v111 dst_sel:DWORD dst_unused:UNUSED_PAD src0_sel:DWORD src1_sel:WORD_1
	v_lshrrev_b32_e32 v145, 16, v135
	v_fma_f16 v132, v139, v118, -v132
	v_fmac_f16_e32 v141, v115, v118
	v_mul_f16_sdwa v115, v126, v111 dst_sel:DWORD dst_unused:UNUSED_PAD src0_sel:DWORD src1_sel:WORD_1
	v_lshrrev_b32_e32 v118, 16, v133
	ds_read_b32 v139, v67 offset:26000
	v_fma_f16 v117, v126, v111, -v117
	s_waitcnt vmcnt(10)
	v_mul_f16_sdwa v126, v145, v119 dst_sel:DWORD dst_unused:UNUSED_PAD src0_sel:DWORD src1_sel:WORD_1
	v_fmac_f16_e32 v115, v138, v111
	v_mul_f16_sdwa v111, v135, v119 dst_sel:DWORD dst_unused:UNUSED_PAD src0_sel:DWORD src1_sel:WORD_1
	s_waitcnt vmcnt(9)
	v_mul_f16_sdwa v138, v118, v120 dst_sel:DWORD dst_unused:UNUSED_PAD src0_sel:DWORD src1_sel:WORD_1
	v_pack_b32_f16 v109, v109, v129
	s_waitcnt lgkmcnt(1)
	v_lshrrev_b32_e32 v147, 16, v116
	v_fma_f16 v126, v135, v119, -v126
	v_fmac_f16_e32 v111, v145, v119
	v_mul_f16_sdwa v119, v133, v120 dst_sel:DWORD dst_unused:UNUSED_PAD src0_sel:DWORD src1_sel:WORD_1
	v_fma_f16 v133, v133, v120, -v138
	v_lshrrev_b32_e32 v138, 16, v127
	s_waitcnt vmcnt(8)
	v_mul_f16_sdwa v135, v147, v121 dst_sel:DWORD dst_unused:UNUSED_PAD src0_sel:DWORD src1_sel:WORD_1
	v_mul_f16_sdwa v145, v116, v121 dst_sel:DWORD dst_unused:UNUSED_PAD src0_sel:DWORD src1_sel:WORD_1
	v_fmac_f16_e32 v119, v118, v120
	v_lshrrev_b32_e32 v118, 16, v136
	s_waitcnt vmcnt(7)
	v_mul_f16_sdwa v120, v138, v122 dst_sel:DWORD dst_unused:UNUSED_PAD src0_sel:DWORD src1_sel:WORD_1
	v_fma_f16 v116, v116, v121, -v135
	v_fmac_f16_e32 v145, v147, v121
	v_mul_f16_sdwa v121, v127, v122 dst_sel:DWORD dst_unused:UNUSED_PAD src0_sel:DWORD src1_sel:WORD_1
	s_waitcnt vmcnt(6)
	v_mul_f16_sdwa v135, v118, v123 dst_sel:DWORD dst_unused:UNUSED_PAD src0_sel:DWORD src1_sel:WORD_1
	s_waitcnt lgkmcnt(0)
	v_lshrrev_b32_e32 v147, 16, v139
	v_fma_f16 v120, v127, v122, -v120
	v_mul_f16_sdwa v127, v136, v123 dst_sel:DWORD dst_unused:UNUSED_PAD src0_sel:DWORD src1_sel:WORD_1
	v_fmac_f16_e32 v121, v138, v122
	v_fma_f16 v122, v136, v123, -v135
	s_waitcnt vmcnt(5)
	v_mul_f16_sdwa v135, v147, v124 dst_sel:DWORD dst_unused:UNUSED_PAD src0_sel:DWORD src1_sel:WORD_1
	v_lshrrev_b32_e32 v136, 16, v146
	v_fmac_f16_e32 v127, v118, v123
	v_mul_f16_sdwa v118, v139, v124 dst_sel:DWORD dst_unused:UNUSED_PAD src0_sel:DWORD src1_sel:WORD_1
	v_lshrrev_b32_e32 v123, 16, v128
	v_fma_f16 v135, v139, v124, -v135
	s_waitcnt vmcnt(4)
	v_mul_f16_sdwa v138, v136, v125 dst_sel:DWORD dst_unused:UNUSED_PAD src0_sel:DWORD src1_sel:WORD_1
	v_mul_f16_sdwa v139, v146, v125 dst_sel:DWORD dst_unused:UNUSED_PAD src0_sel:DWORD src1_sel:WORD_1
	v_fmac_f16_e32 v118, v147, v124
	s_waitcnt vmcnt(3)
	v_mul_f16_sdwa v124, v123, v106 dst_sel:DWORD dst_unused:UNUSED_PAD src0_sel:DWORD src1_sel:WORD_1
	v_lshrrev_b32_e32 v147, 16, v137
	v_fma_f16 v138, v146, v125, -v138
	v_fmac_f16_e32 v139, v136, v125
	v_mul_f16_sdwa v125, v128, v106 dst_sel:DWORD dst_unused:UNUSED_PAD src0_sel:DWORD src1_sel:WORD_1
	v_fma_f16 v124, v128, v106, -v124
	s_waitcnt vmcnt(2)
	v_mul_f16_sdwa v128, v147, v107 dst_sel:DWORD dst_unused:UNUSED_PAD src0_sel:DWORD src1_sel:WORD_1
	v_lshrrev_b32_e32 v136, 16, v143
	v_mul_f16_sdwa v146, v137, v107 dst_sel:DWORD dst_unused:UNUSED_PAD src0_sel:DWORD src1_sel:WORD_1
	v_fmac_f16_e32 v125, v123, v106
	s_waitcnt vmcnt(0)
	v_mul_f16_sdwa v149, v130, v75 dst_sel:DWORD dst_unused:UNUSED_PAD src0_sel:DWORD src1_sel:WORD_1
	v_fma_f16 v106, v137, v107, -v128
	v_mul_f16_sdwa v123, v136, v104 dst_sel:DWORD dst_unused:UNUSED_PAD src0_sel:DWORD src1_sel:WORD_1
	v_mul_f16_sdwa v128, v143, v104 dst_sel:DWORD dst_unused:UNUSED_PAD src0_sel:DWORD src1_sel:WORD_1
	;; [unrolled: 1-line block ×3, first 2 shown]
	v_fmac_f16_e32 v146, v147, v107
	v_fmac_f16_e32 v149, v148, v75
	v_fma_f16 v107, v143, v104, -v123
	v_fmac_f16_e32 v128, v136, v104
	v_fma_f16 v104, v130, v75, -v137
	v_pack_b32_f16 v75, v76, v140
	v_pack_b32_f16 v76, v105, v112
	;; [unrolled: 1-line block ×4, first 2 shown]
	ds_write_b32 v67, v75
	ds_write_b32 v67, v76 offset:10000
	ds_write_b32 v67, v105 offset:20000
	ds_write_b32 v67, v108 offset:30000
	ds_write_b32 v67, v109 offset:2000
	v_pack_b32_f16 v75, v110, v144
	v_pack_b32_f16 v76, v114, v134
	v_pack_b32_f16 v105, v132, v141
	v_pack_b32_f16 v108, v117, v115
	v_pack_b32_f16 v109, v126, v111
	ds_write_b32 v67, v75 offset:12000
	ds_write_b32 v67, v76 offset:22000
	ds_write_b32 v67, v105 offset:32000
	ds_write_b32 v67, v108 offset:4000
	ds_write_b32 v67, v109 offset:14000
	v_pack_b32_f16 v75, v133, v119
	v_pack_b32_f16 v76, v116, v145
	v_pack_b32_f16 v105, v120, v121
	v_pack_b32_f16 v108, v122, v127
	v_pack_b32_f16 v109, v135, v118
	ds_write_b32 v67, v75 offset:24000
	;; [unrolled: 10-line block ×3, first 2 shown]
	ds_write_b32 v67, v76 offset:8000
	ds_write_b32 v67, v105 offset:18000
	;; [unrolled: 1-line block ×4, first 2 shown]
	s_waitcnt lgkmcnt(0)
	s_barrier
	buffer_gl0_inv
	ds_read_b32 v75, v67
	ds_read_b32 v76, v67 offset:20000
	ds_read_b32 v104, v67 offset:10000
	;; [unrolled: 1-line block ×19, first 2 shown]
	s_waitcnt lgkmcnt(0)
	s_barrier
	buffer_gl0_inv
	v_pk_add_f16 v76, v75, v76 neg_lo:[0,1] neg_hi:[0,1]
	v_pk_add_f16 v105, v104, v105 neg_lo:[0,1] neg_hi:[0,1]
	v_lshrrev_b32_e32 v107, 16, v76
	v_pk_fma_f16 v75, v75, 2.0, v76 op_sel_hi:[1,0,1] neg_lo:[0,0,1] neg_hi:[0,0,1]
	v_add_f16_sdwa v122, v76, v105 dst_sel:DWORD dst_unused:UNUSED_PAD src0_sel:DWORD src1_sel:WORD_1
	v_pk_fma_f16 v104, v104, 2.0, v105 op_sel_hi:[1,0,1] neg_lo:[0,0,1] neg_hi:[0,0,1]
	v_pk_add_f16 v125, v108, v106 neg_lo:[0,1] neg_hi:[0,1]
	v_sub_f16_e32 v115, v107, v105
	v_pk_add_f16 v109, v110, v109 neg_lo:[0,1] neg_hi:[0,1]
	v_fma_f16 v76, v76, 2.0, -v122
	v_pk_add_f16 v106, v75, v104 neg_lo:[0,1] neg_hi:[0,1]
	v_pk_fma_f16 v108, v108, 2.0, v125 op_sel_hi:[1,0,1] neg_lo:[0,0,1] neg_hi:[0,0,1]
	v_fma_f16 v105, v107, 2.0, -v115
	v_pack_b32_f16 v107, v122, v115
	v_lshrrev_b32_e32 v115, 16, v125
	v_pk_fma_f16 v104, v75, 2.0, v106 op_sel_hi:[1,0,1] neg_lo:[0,0,1] neg_hi:[0,0,1]
	v_pk_add_f16 v122, v112, v123 neg_lo:[0,1] neg_hi:[0,1]
	v_pack_b32_f16 v105, v76, v105
	v_pk_add_f16 v76, v113, v111 neg_lo:[0,1] neg_hi:[0,1]
	v_sub_f16_e32 v75, v115, v109
	v_add_f16_sdwa v111, v125, v109 dst_sel:DWORD dst_unused:UNUSED_PAD src0_sel:DWORD src1_sel:WORD_1
	v_pk_fma_f16 v109, v110, 2.0, v109 op_sel_hi:[1,0,1] neg_lo:[0,0,1] neg_hi:[0,0,1]
	v_pk_fma_f16 v112, v112, 2.0, v122 op_sel_hi:[1,0,1] neg_lo:[0,0,1] neg_hi:[0,0,1]
	v_lshrrev_b32_e32 v123, 16, v76
	v_fma_f16 v115, v115, 2.0, -v75
	v_fma_f16 v125, v125, 2.0, -v111
	v_pack_b32_f16 v111, v111, v75
	v_add_f16_sdwa v75, v76, v122 dst_sel:DWORD dst_unused:UNUSED_PAD src0_sel:DWORD src1_sel:WORD_1
	v_sub_f16_e32 v126, v123, v122
	v_pk_add_f16 v110, v108, v109 neg_lo:[0,1] neg_hi:[0,1]
	v_pack_b32_f16 v109, v125, v115
	v_pk_add_f16 v125, v116, v114 neg_lo:[0,1] neg_hi:[0,1]
	v_pk_fma_f16 v127, v113, 2.0, v76 op_sel_hi:[1,0,1] neg_lo:[0,0,1] neg_hi:[0,0,1]
	v_fma_f16 v123, v123, 2.0, -v126
	v_fma_f16 v76, v76, 2.0, -v75
	v_pk_add_f16 v122, v120, v124 neg_lo:[0,1] neg_hi:[0,1]
	v_pack_b32_f16 v115, v75, v126
	v_pk_add_f16 v75, v117, v121 neg_lo:[0,1] neg_hi:[0,1]
	v_lshrrev_b32_e32 v124, 16, v125
	v_pk_add_f16 v114, v127, v112 neg_lo:[0,1] neg_hi:[0,1]
	v_pack_b32_f16 v113, v76, v123
	v_add_f16_sdwa v121, v125, v122 dst_sel:DWORD dst_unused:UNUSED_PAD src0_sel:DWORD src1_sel:WORD_1
	v_pk_add_f16 v119, v118, v119 neg_lo:[0,1] neg_hi:[0,1]
	v_lshrrev_b32_e32 v123, 16, v75
	v_sub_f16_e32 v76, v124, v122
	v_pk_fma_f16 v116, v116, 2.0, v125 op_sel_hi:[1,0,1] neg_lo:[0,0,1] neg_hi:[0,0,1]
	v_pk_fma_f16 v120, v120, 2.0, v122 op_sel_hi:[1,0,1] neg_lo:[0,0,1] neg_hi:[0,0,1]
	;; [unrolled: 1-line block ×3, first 2 shown]
	v_fma_f16 v126, v125, 2.0, -v121
	v_sub_f16_e32 v125, v123, v119
	v_add_f16_sdwa v127, v75, v119 dst_sel:DWORD dst_unused:UNUSED_PAD src0_sel:DWORD src1_sel:WORD_1
	v_pk_fma_f16 v128, v117, 2.0, v75 op_sel_hi:[1,0,1] neg_lo:[0,0,1] neg_hi:[0,0,1]
	v_pk_fma_f16 v117, v118, 2.0, v119 op_sel_hi:[1,0,1] neg_lo:[0,0,1] neg_hi:[0,0,1]
	v_fma_f16 v124, v124, 2.0, -v76
	v_pk_add_f16 v118, v116, v120 neg_lo:[0,1] neg_hi:[0,1]
	v_pack_b32_f16 v119, v121, v76
	v_fma_f16 v76, v123, 2.0, -v125
	v_fma_f16 v75, v75, 2.0, -v127
	v_pk_add_f16 v122, v128, v117 neg_lo:[0,1] neg_hi:[0,1]
	v_pk_fma_f16 v108, v108, 2.0, v110 op_sel_hi:[1,0,1] neg_lo:[0,0,1] neg_hi:[0,0,1]
	v_pack_b32_f16 v117, v126, v124
	v_pk_fma_f16 v116, v116, 2.0, v118 op_sel_hi:[1,0,1] neg_lo:[0,0,1] neg_hi:[0,0,1]
	v_pack_b32_f16 v123, v127, v125
	v_pack_b32_f16 v121, v75, v76
	v_pk_fma_f16 v120, v128, 2.0, v122 op_sel_hi:[1,0,1] neg_lo:[0,0,1] neg_hi:[0,0,1]
	ds_write_b128 v78, v[104:107]
	ds_write_b128 v79, v[108:111]
	;; [unrolled: 1-line block ×4, first 2 shown]
	ds_write_b128 v77, v[120:123] offset:32000
	s_waitcnt lgkmcnt(0)
	s_barrier
	buffer_gl0_inv
	ds_read_b32 v76, v67 offset:8000
	ds_read_b32 v77, v67 offset:16000
	;; [unrolled: 1-line block ×13, first 2 shown]
	s_waitcnt lgkmcnt(12)
	v_lshrrev_b32_e32 v79, 16, v76
	s_waitcnt lgkmcnt(11)
	v_lshrrev_b32_e32 v105, 16, v77
	v_mul_f16_sdwa v81, v0, v76 dst_sel:DWORD dst_unused:UNUSED_PAD src0_sel:WORD_1 src1_sel:DWORD
	s_waitcnt lgkmcnt(10)
	v_lshrrev_b32_e32 v106, 16, v78
	s_waitcnt lgkmcnt(8)
	v_mul_f16_sdwa v112, v3, v80 dst_sel:DWORD dst_unused:UNUSED_PAD src0_sel:WORD_1 src1_sel:DWORD
	v_mul_f16_sdwa v107, v0, v79 dst_sel:DWORD dst_unused:UNUSED_PAD src0_sel:WORD_1 src1_sel:DWORD
	;; [unrolled: 1-line block ×3, first 2 shown]
	v_fma_f16 v108, v0, v79, -v81
	ds_read_b32 v79, v67 offset:26000
	v_mul_f16_sdwa v110, v2, v106 dst_sel:DWORD dst_unused:UNUSED_PAD src0_sel:WORD_1 src1_sel:DWORD
	v_fmac_f16_e32 v107, v0, v76
	v_mul_f16_sdwa v76, v1, v77 dst_sel:DWORD dst_unused:UNUSED_PAD src0_sel:WORD_1 src1_sel:DWORD
	v_fmac_f16_e32 v111, v1, v77
	ds_read_b32 v77, v67 offset:12000
	v_mul_f16_sdwa v81, v2, v78 dst_sel:DWORD dst_unused:UNUSED_PAD src0_sel:WORD_1 src1_sel:DWORD
	v_fmac_f16_e32 v110, v2, v78
	v_fma_f16 v115, v1, v105, -v76
	v_lshrrev_b32_e32 v76, 16, v80
	s_waitcnt lgkmcnt(9)
	v_lshrrev_b32_e32 v78, 16, v104
	v_fma_f16 v120, v2, v106, -v81
	s_waitcnt lgkmcnt(8)
	v_lshrrev_b32_e32 v81, 16, v109
	s_waitcnt lgkmcnt(6)
	v_lshrrev_b32_e32 v134, 16, v123
	v_mul_f16_sdwa v122, v3, v76 dst_sel:DWORD dst_unused:UNUSED_PAD src0_sel:WORD_1 src1_sel:DWORD
	v_mul_f16_sdwa v105, v0, v78 dst_sel:DWORD dst_unused:UNUSED_PAD src0_sel:WORD_1 src1_sel:DWORD
	v_fma_f16 v121, v3, v76, -v112
	v_mul_f16_sdwa v106, v1, v81 dst_sel:DWORD dst_unused:UNUSED_PAD src0_sel:WORD_1 src1_sel:DWORD
	s_waitcnt lgkmcnt(4)
	v_lshrrev_b32_e32 v135, 16, v125
	v_fmac_f16_e32 v122, v3, v80
	v_mul_f16_sdwa v80, v0, v104 dst_sel:DWORD dst_unused:UNUSED_PAD src0_sel:WORD_1 src1_sel:DWORD
	v_fmac_f16_e32 v105, v0, v104
	s_waitcnt lgkmcnt(1)
	v_lshrrev_b32_e32 v112, 16, v79
	v_fmac_f16_e32 v106, v1, v109
	v_mul_f16_sdwa v116, v2, v79 dst_sel:DWORD dst_unused:UNUSED_PAD src0_sel:WORD_1 src1_sel:DWORD
	v_fma_f16 v104, v0, v78, -v80
	ds_read_b32 v76, v67 offset:4000
	ds_read_b32 v126, v67 offset:36000
	;; [unrolled: 1-line block ×4, first 2 shown]
	ds_read_b32 v128, v67
	v_mul_f16_sdwa v78, v1, v109 dst_sel:DWORD dst_unused:UNUSED_PAD src0_sel:WORD_1 src1_sel:DWORD
	v_lshrrev_b32_e32 v109, 16, v114
	v_mul_f16_sdwa v129, v2, v112 dst_sel:DWORD dst_unused:UNUSED_PAD src0_sel:WORD_1 src1_sel:DWORD
	v_fma_f16 v132, v2, v112, -v116
	v_sub_f16_e32 v136, v122, v110
	v_fma_f16 v130, v1, v81, -v78
	s_waitcnt lgkmcnt(5)
	v_lshrrev_b32_e32 v78, 16, v77
	v_mul_f16_sdwa v131, v3, v109 dst_sel:DWORD dst_unused:UNUSED_PAD src0_sel:WORD_1 src1_sel:DWORD
	v_fmac_f16_e32 v129, v2, v79
	v_mul_f16_sdwa v79, v3, v114 dst_sel:DWORD dst_unused:UNUSED_PAD src0_sel:WORD_1 src1_sel:DWORD
	v_lshrrev_b32_e32 v81, 16, v113
	v_mul_f16_sdwa v112, v0, v78 dst_sel:DWORD dst_unused:UNUSED_PAD src0_sel:WORD_1 src1_sel:DWORD
	v_fmac_f16_e32 v131, v3, v114
	v_mul_f16_sdwa v114, v0, v77 dst_sel:DWORD dst_unused:UNUSED_PAD src0_sel:WORD_1 src1_sel:DWORD
	v_fma_f16 v133, v3, v109, -v79
	v_mul_f16_sdwa v116, v1, v81 dst_sel:DWORD dst_unused:UNUSED_PAD src0_sel:WORD_1 src1_sel:DWORD
	v_fmac_f16_e32 v112, v0, v77
	v_lshrrev_b32_e32 v77, 16, v117
	v_fma_f16 v109, v0, v78, -v114
	s_waitcnt lgkmcnt(3)
	v_lshrrev_b32_e32 v79, 16, v126
	v_mul_f16_sdwa v78, v1, v113 dst_sel:DWORD dst_unused:UNUSED_PAD src0_sel:WORD_1 src1_sel:DWORD
	v_fmac_f16_e32 v116, v1, v113
	v_mul_f16_sdwa v118, v2, v77 dst_sel:DWORD dst_unused:UNUSED_PAD src0_sel:WORD_1 src1_sel:DWORD
	v_mul_f16_sdwa v114, v2, v117 dst_sel:DWORD dst_unused:UNUSED_PAD src0_sel:WORD_1 src1_sel:DWORD
	;; [unrolled: 1-line block ×3, first 2 shown]
	v_fma_f16 v113, v1, v81, -v78
	v_lshrrev_b32_e32 v81, 16, v124
	v_fmac_f16_e32 v118, v2, v117
	v_fma_f16 v114, v2, v77, -v114
	v_mul_f16_sdwa v117, v3, v126 dst_sel:DWORD dst_unused:UNUSED_PAD src0_sel:WORD_1 src1_sel:DWORD
	v_fmac_f16_e32 v119, v3, v126
	v_mul_f16_sdwa v77, v0, v81 dst_sel:DWORD dst_unused:UNUSED_PAD src0_sel:WORD_1 src1_sel:DWORD
	v_mul_f16_sdwa v126, v0, v124 dst_sel:DWORD dst_unused:UNUSED_PAD src0_sel:WORD_1 src1_sel:DWORD
	;; [unrolled: 1-line block ×3, first 2 shown]
	v_fma_f16 v117, v3, v79, -v117
	v_mul_f16_sdwa v79, v2, v135 dst_sel:DWORD dst_unused:UNUSED_PAD src0_sel:WORD_1 src1_sel:DWORD
	v_fmac_f16_e32 v77, v0, v124
	v_fma_f16 v0, v0, v81, -v126
	v_fmac_f16_e32 v78, v1, v123
	v_mul_f16_sdwa v81, v1, v123 dst_sel:DWORD dst_unused:UNUSED_PAD src0_sel:WORD_1 src1_sel:DWORD
	v_mul_f16_sdwa v123, v2, v125 dst_sel:DWORD dst_unused:UNUSED_PAD src0_sel:WORD_1 src1_sel:DWORD
	v_sub_f16_e32 v126, v107, v111
	v_fmac_f16_e32 v79, v2, v125
	s_waitcnt lgkmcnt(0)
	v_add_f16_e32 v137, v128, v107
	v_lshrrev_b32_e32 v124, 16, v127
	v_fma_f16 v2, v2, v135, -v123
	v_add_f16_e32 v123, v126, v136
	v_lshrrev_b32_e32 v126, 16, v128
	v_sub_f16_e32 v125, v108, v115
	v_sub_f16_e32 v135, v121, v120
	v_add_f16_e32 v137, v137, v111
	v_fma_f16 v1, v1, v134, -v81
	v_add_f16_e32 v138, v126, v108
	v_mul_f16_sdwa v81, v3, v124 dst_sel:DWORD dst_unused:UNUSED_PAD src0_sel:WORD_1 src1_sel:DWORD
	v_add_f16_e32 v125, v125, v135
	v_add_f16_e32 v135, v137, v110
	;; [unrolled: 1-line block ×5, first 2 shown]
	v_sub_f16_e32 v140, v107, v122
	v_sub_f16_e32 v144, v111, v110
	v_fmac_f16_e32 v81, v3, v127
	v_add_f16_e32 v137, v138, v120
	v_mul_f16_sdwa v138, v3, v127 dst_sel:DWORD dst_unused:UNUSED_PAD src0_sel:WORD_1 src1_sel:DWORD
	v_fma_f16 v134, -0.5, v134, v128
	v_fma_f16 v136, -0.5, v136, v126
	v_sub_f16_e32 v142, v115, v120
	v_sub_f16_e32 v110, v110, v122
	v_fma_f16 v3, v3, v124, -v138
	v_add_f16_e32 v124, v107, v122
	v_sub_f16_e32 v107, v111, v107
	v_add_f16_e32 v111, v108, v121
	v_sub_f16_e32 v139, v108, v121
	v_add_f16_e32 v135, v135, v122
	v_fmac_f16_e32 v128, -0.5, v124
	v_add_f16_e32 v107, v107, v110
	v_fmac_f16_e32 v126, -0.5, v111
	v_sub_f16_e32 v108, v115, v108
	v_sub_f16_e32 v110, v120, v121
	v_fmamk_f16 v122, v142, 0x3b9c, v128
	v_fmac_f16_e32 v128, 0xbb9c, v142
	v_fmamk_f16 v111, v144, 0xbb9c, v126
	v_fmac_f16_e32 v126, 0x3b9c, v144
	v_add_f16_e32 v108, v108, v110
	v_fmac_f16_e32 v122, 0xb8b4, v139
	v_fmac_f16_e32 v128, 0x38b4, v139
	;; [unrolled: 1-line block ×4, first 2 shown]
	v_fmamk_f16 v141, v139, 0xbb9c, v134
	v_fmac_f16_e32 v122, 0x34f2, v107
	v_fmac_f16_e32 v128, 0x34f2, v107
	;; [unrolled: 1-line block ×4, first 2 shown]
	v_fmamk_f16 v143, v140, 0x3b9c, v136
	v_fmac_f16_e32 v141, 0xb8b4, v142
	v_pack_b32_f16 v107, v122, v111
	v_pack_b32_f16 v108, v128, v126
	v_fmac_f16_e32 v143, 0x38b4, v144
	s_barrier
	buffer_gl0_inv
	v_fmac_f16_e32 v134, 0x3b9c, v139
	v_sub_f16_e32 v110, v105, v106
	v_sub_f16_e32 v111, v131, v129
	ds_write2_b32 v87, v107, v108 offset0:8 offset1:12
	v_sub_f16_e32 v107, v104, v130
	v_sub_f16_e32 v108, v133, v132
	v_add_f16_e32 v137, v137, v121
	v_fmac_f16_e32 v141, 0x34f2, v123
	v_fmac_f16_e32 v143, 0x34f2, v125
	;; [unrolled: 1-line block ×4, first 2 shown]
	v_add_f16_e32 v110, v110, v111
	v_lshrrev_b32_e32 v111, 16, v80
	v_add_f16_e32 v120, v106, v129
	v_add_f16_e32 v107, v107, v108
	;; [unrolled: 1-line block ×3, first 2 shown]
	v_pack_b32_f16 v127, v135, v137
	v_pack_b32_f16 v135, v141, v143
	v_fmac_f16_e32 v136, 0xb8b4, v144
	v_fmac_f16_e32 v134, 0x34f2, v123
	v_add_f16_e32 v121, v80, v105
	v_add_f16_e32 v122, v111, v104
	v_fma_f16 v120, -0.5, v120, v80
	v_sub_f16_e32 v123, v104, v133
	v_fma_f16 v108, -0.5, v108, v111
	v_sub_f16_e32 v124, v105, v131
	ds_write2_b32 v87, v127, v135 offset1:4
	v_fmac_f16_e32 v136, 0x34f2, v125
	v_add_f16_e32 v121, v121, v106
	v_add_f16_e32 v122, v122, v130
	v_fmamk_f16 v125, v123, 0xbb9c, v120
	v_sub_f16_e32 v126, v130, v132
	v_fmamk_f16 v127, v124, 0x3b9c, v108
	v_sub_f16_e32 v128, v106, v129
	v_pack_b32_f16 v115, v134, v136
	v_add_f16_e32 v121, v121, v129
	v_add_f16_e32 v122, v122, v132
	v_fmac_f16_e32 v125, 0xb8b4, v126
	v_add_f16_e32 v134, v105, v131
	v_fmac_f16_e32 v127, 0x38b4, v128
	v_sub_f16_e32 v105, v106, v105
	v_sub_f16_e32 v106, v129, v131
	v_add_f16_e32 v129, v104, v133
	v_add_f16_e32 v121, v121, v131
	;; [unrolled: 1-line block ×3, first 2 shown]
	v_fmac_f16_e32 v125, 0x34f2, v110
	v_fmac_f16_e32 v80, -0.5, v134
	v_fmac_f16_e32 v127, 0x34f2, v107
	v_fmac_f16_e32 v111, -0.5, v129
	v_fmac_f16_e32 v120, 0x3b9c, v123
	v_fmac_f16_e32 v108, 0xbb9c, v124
	v_pack_b32_f16 v121, v121, v122
	v_fmamk_f16 v122, v126, 0x3b9c, v80
	v_pack_b32_f16 v125, v125, v127
	v_add_f16_e32 v105, v105, v106
	v_fmac_f16_e32 v80, 0xbb9c, v126
	v_sub_f16_e32 v104, v130, v104
	v_sub_f16_e32 v106, v132, v133
	v_fmamk_f16 v127, v128, 0xbb9c, v111
	v_fmac_f16_e32 v111, 0x3b9c, v128
	v_fmac_f16_e32 v120, 0x38b4, v126
	;; [unrolled: 1-line block ×5, first 2 shown]
	v_add_f16_e32 v104, v104, v106
	v_fmac_f16_e32 v127, 0x38b4, v124
	v_fmac_f16_e32 v111, 0xb8b4, v124
	;; [unrolled: 1-line block ×8, first 2 shown]
	v_pack_b32_f16 v104, v120, v108
	ds_write_b32 v87, v115 offset:64
	v_sub_f16_e32 v105, v112, v116
	v_pack_b32_f16 v87, v122, v127
	v_pack_b32_f16 v80, v80, v111
	v_sub_f16_e32 v106, v119, v118
	ds_write_b32 v86, v104 offset:64
	v_lshrrev_b32_e32 v104, 16, v76
	ds_write2_b32 v86, v121, v125 offset1:4
	ds_write2_b32 v86, v87, v80 offset0:8 offset1:12
	v_add_f16_e32 v86, v105, v106
	v_add_f16_e32 v106, v76, v112
	;; [unrolled: 1-line block ×3, first 2 shown]
	v_sub_f16_e32 v80, v109, v113
	v_sub_f16_e32 v87, v117, v114
	v_add_f16_e32 v105, v116, v118
	v_add_f16_e32 v106, v106, v116
	;; [unrolled: 1-line block ×3, first 2 shown]
	v_sub_f16_e32 v110, v112, v119
	v_add_f16_e32 v80, v80, v87
	v_add_f16_e32 v87, v113, v114
	v_sub_f16_e32 v121, v116, v118
	v_add_f16_e32 v106, v106, v118
	v_add_f16_e32 v107, v107, v114
	;; [unrolled: 1-line block ×3, first 2 shown]
	v_sub_f16_e32 v112, v116, v112
	v_sub_f16_e32 v116, v118, v119
	v_add_f16_e32 v118, v109, v117
	v_fma_f16 v105, -0.5, v105, v76
	v_fma_f16 v87, -0.5, v87, v104
	v_sub_f16_e32 v115, v113, v114
	v_add_f16_e32 v106, v106, v119
	v_add_f16_e32 v107, v107, v117
	v_fmac_f16_e32 v76, -0.5, v122
	v_fmac_f16_e32 v104, -0.5, v118
	v_sub_f16_e32 v108, v109, v117
	v_sub_f16_e32 v109, v113, v109
	v_pack_b32_f16 v106, v106, v107
	v_fmamk_f16 v107, v115, 0x3b9c, v76
	v_fmac_f16_e32 v76, 0xbb9c, v115
	v_sub_f16_e32 v113, v114, v117
	v_fmamk_f16 v114, v121, 0xbb9c, v104
	v_fmac_f16_e32 v104, 0x3b9c, v121
	v_fmamk_f16 v111, v108, 0xbb9c, v105
	v_add_f16_e32 v112, v112, v116
	v_fmac_f16_e32 v76, 0x38b4, v108
	v_add_f16_e32 v109, v109, v113
	v_fmac_f16_e32 v105, 0x3b9c, v108
	v_fmac_f16_e32 v104, 0xb8b4, v110
	v_fmamk_f16 v120, v110, 0x3b9c, v87
	v_fmac_f16_e32 v111, 0xb8b4, v115
	v_fmac_f16_e32 v76, 0x34f2, v112
	;; [unrolled: 1-line block ×8, first 2 shown]
	v_pack_b32_f16 v76, v76, v104
	v_sub_f16_e32 v86, v77, v78
	v_sub_f16_e32 v104, v81, v79
	v_fmac_f16_e32 v120, 0x34f2, v80
	v_fmac_f16_e32 v107, 0xb8b4, v108
	;; [unrolled: 1-line block ×4, first 2 shown]
	v_add_f16_e32 v86, v86, v104
	v_add_f16_e32 v104, v75, v77
	v_pack_b32_f16 v111, v111, v120
	v_fmac_f16_e32 v107, 0x34f2, v112
	v_fmac_f16_e32 v114, 0x34f2, v109
	v_fmac_f16_e32 v87, 0x34f2, v80
	v_add_f16_e32 v104, v104, v78
	ds_write2_b32 v82, v106, v111 offset1:4
	v_sub_f16_e32 v106, v0, v1
	v_pack_b32_f16 v80, v107, v114
	v_sub_f16_e32 v107, v3, v2
	v_pack_b32_f16 v87, v105, v87
	v_lshrrev_b32_e32 v105, 16, v75
	v_add_f16_e32 v104, v104, v79
	v_add_f16_e32 v109, v78, v79
	;; [unrolled: 1-line block ×5, first 2 shown]
	v_sub_f16_e32 v111, v77, v81
	v_add_f16_e32 v115, v77, v81
	v_sub_f16_e32 v116, v78, v79
	v_add_f16_e32 v104, v104, v81
	v_sub_f16_e32 v77, v78, v77
	v_sub_f16_e32 v78, v79, v81
	v_add_f16_e32 v81, v0, v3
	v_fma_f16 v109, -0.5, v109, v75
	v_sub_f16_e32 v110, v0, v3
	v_fma_f16 v107, -0.5, v107, v105
	v_add_f16_e32 v108, v108, v1
	v_sub_f16_e32 v113, v1, v2
	v_fmac_f16_e32 v75, -0.5, v115
	v_fmac_f16_e32 v105, -0.5, v81
	v_fmamk_f16 v112, v110, 0xbb9c, v109
	v_fmamk_f16 v114, v111, 0x3b9c, v107
	v_add_f16_e32 v108, v108, v2
	v_fmamk_f16 v79, v113, 0x3b9c, v75
	v_fmac_f16_e32 v75, 0xbb9c, v113
	v_sub_f16_e32 v0, v1, v0
	v_sub_f16_e32 v1, v2, v3
	v_fmamk_f16 v2, v116, 0xbb9c, v105
	v_fmac_f16_e32 v105, 0x3b9c, v116
	v_fmac_f16_e32 v109, 0x3b9c, v110
	;; [unrolled: 1-line block ×5, first 2 shown]
	v_add_f16_e32 v77, v77, v78
	v_fmac_f16_e32 v79, 0xb8b4, v110
	v_fmac_f16_e32 v75, 0x38b4, v110
	v_add_f16_e32 v0, v0, v1
	v_fmac_f16_e32 v2, 0x38b4, v111
	v_fmac_f16_e32 v105, 0xb8b4, v111
	;; [unrolled: 1-line block ×4, first 2 shown]
	v_add_f16_e32 v108, v108, v3
	v_fmac_f16_e32 v112, 0x34f2, v86
	v_fmac_f16_e32 v114, 0x34f2, v106
	v_fmac_f16_e32 v79, 0x34f2, v77
	v_fmac_f16_e32 v75, 0x34f2, v77
	v_fmac_f16_e32 v2, 0x34f2, v0
	v_fmac_f16_e32 v105, 0x34f2, v0
	v_fmac_f16_e32 v109, 0x34f2, v86
	v_fmac_f16_e32 v107, 0x34f2, v106
	v_pack_b32_f16 v0, v104, v108
	v_pack_b32_f16 v1, v112, v114
	;; [unrolled: 1-line block ×5, first 2 shown]
	ds_write2_b32 v82, v80, v76 offset0:8 offset1:12
	ds_write_b32 v82, v87 offset:64
	ds_write2_b32 v83, v0, v1 offset1:4
	ds_write2_b32 v83, v2, v3 offset0:8 offset1:12
	ds_write_b32 v83, v75 offset:64
	s_waitcnt lgkmcnt(0)
	s_barrier
	buffer_gl0_inv
	ds_read_b32 v1, v67 offset:8000
	ds_read_b32 v2, v67 offset:16000
	;; [unrolled: 1-line block ×13, first 2 shown]
	s_waitcnt lgkmcnt(12)
	v_lshrrev_b32_e32 v76, 16, v1
	v_mul_f16_sdwa v77, v16, v1 dst_sel:DWORD dst_unused:UNUSED_PAD src0_sel:WORD_1 src1_sel:DWORD
	s_waitcnt lgkmcnt(11)
	v_lshrrev_b32_e32 v79, 16, v2
	s_waitcnt lgkmcnt(10)
	v_lshrrev_b32_e32 v82, 16, v3
	;; [unrolled: 2-line block ×3, first 2 shown]
	v_mul_f16_sdwa v75, v16, v76 dst_sel:DWORD dst_unused:UNUSED_PAD src0_sel:WORD_1 src1_sel:DWORD
	v_fma_f16 v76, v16, v76, -v77
	v_mul_f16_sdwa v77, v17, v79 dst_sel:DWORD dst_unused:UNUSED_PAD src0_sel:WORD_1 src1_sel:DWORD
	v_mul_f16_sdwa v78, v18, v82 dst_sel:DWORD dst_unused:UNUSED_PAD src0_sel:WORD_1 src1_sel:DWORD
	s_waitcnt lgkmcnt(6)
	v_lshrrev_b32_e32 v110, 16, v87
	v_fmac_f16_e32 v75, v16, v1
	v_mul_f16_sdwa v1, v17, v2 dst_sel:DWORD dst_unused:UNUSED_PAD src0_sel:WORD_1 src1_sel:DWORD
	v_mul_f16_sdwa v16, v18, v3 dst_sel:DWORD dst_unused:UNUSED_PAD src0_sel:WORD_1 src1_sel:DWORD
	v_fmac_f16_e32 v77, v17, v2
	ds_read_b32 v2, v67 offset:30000
	v_fmac_f16_e32 v78, v18, v3
	ds_read_b32 v3, v67 offset:12000
	v_fma_f16 v79, v17, v79, -v1
	v_lshrrev_b32_e32 v1, 16, v80
	v_fma_f16 v82, v18, v82, -v16
	v_mul_f16_sdwa v16, v19, v80 dst_sel:DWORD dst_unused:UNUSED_PAD src0_sel:WORD_1 src1_sel:DWORD
	v_mul_f16_sdwa v17, v12, v108 dst_sel:DWORD dst_unused:UNUSED_PAD src0_sel:WORD_1 src1_sel:DWORD
	;; [unrolled: 1-line block ×4, first 2 shown]
	s_waitcnt lgkmcnt(4)
	v_mul_f16_sdwa v114, v14, v107 dst_sel:DWORD dst_unused:UNUSED_PAD src0_sel:WORD_1 src1_sel:DWORD
	v_fma_f16 v83, v19, v1, -v16
	v_fmac_f16_e32 v17, v12, v81
	v_fmac_f16_e32 v18, v13, v87
	;; [unrolled: 1-line block ×3, first 2 shown]
	v_mul_f16_sdwa v80, v12, v81 dst_sel:DWORD dst_unused:UNUSED_PAD src0_sel:WORD_1 src1_sel:DWORD
	v_lshrrev_b32_e32 v19, 16, v107
	s_waitcnt lgkmcnt(2)
	v_lshrrev_b32_e32 v81, 16, v109
	v_mul_f16_sdwa v117, v10, v111 dst_sel:DWORD dst_unused:UNUSED_PAD src0_sel:WORD_1 src1_sel:DWORD
	v_add_f16_e32 v118, v79, v82
	v_fma_f16 v16, v12, v108, -v80
	v_mul_f16_sdwa v80, v13, v87 dst_sel:DWORD dst_unused:UNUSED_PAD src0_sel:WORD_1 src1_sel:DWORD
	ds_read_b32 v1, v67 offset:4000
	ds_read_b32 v87, v67 offset:36000
	;; [unrolled: 1-line block ×4, first 2 shown]
	ds_read_b32 v112, v67
	v_mul_f16_sdwa v113, v14, v19 dst_sel:DWORD dst_unused:UNUSED_PAD src0_sel:WORD_1 src1_sel:DWORD
	v_mul_f16_sdwa v115, v15, v81 dst_sel:DWORD dst_unused:UNUSED_PAD src0_sel:WORD_1 src1_sel:DWORD
	v_sub_f16_e32 v122, v75, v86
	v_fma_f16 v110, v13, v110, -v80
	s_waitcnt lgkmcnt(5)
	v_lshrrev_b32_e32 v13, 16, v3
	v_fmac_f16_e32 v113, v14, v107
	v_fma_f16 v107, v14, v19, -v114
	v_mul_f16_sdwa v19, v15, v109 dst_sel:DWORD dst_unused:UNUSED_PAD src0_sel:WORD_1 src1_sel:DWORD
	v_fmac_f16_e32 v115, v15, v109
	v_mul_f16_sdwa v14, v8, v13 dst_sel:DWORD dst_unused:UNUSED_PAD src0_sel:WORD_1 src1_sel:DWORD
	v_mul_f16_sdwa v80, v8, v3 dst_sel:DWORD dst_unused:UNUSED_PAD src0_sel:WORD_1 src1_sel:DWORD
	v_lshrrev_b32_e32 v109, 16, v104
	v_fma_f16 v114, v15, v81, -v19
	v_sub_f16_e32 v126, v77, v78
	v_fmac_f16_e32 v14, v8, v3
	v_lshrrev_b32_e32 v3, 16, v111
	v_fma_f16 v13, v8, v13, -v80
	v_mul_f16_sdwa v19, v9, v109 dst_sel:DWORD dst_unused:UNUSED_PAD src0_sel:WORD_1 src1_sel:DWORD
	s_waitcnt lgkmcnt(3)
	v_lshrrev_b32_e32 v116, 16, v87
	v_mul_f16_sdwa v8, v9, v104 dst_sel:DWORD dst_unused:UNUSED_PAD src0_sel:WORD_1 src1_sel:DWORD
	v_mul_f16_sdwa v80, v10, v3 dst_sel:DWORD dst_unused:UNUSED_PAD src0_sel:WORD_1 src1_sel:DWORD
	s_waitcnt lgkmcnt(0)
	v_add_f16_e32 v119, v112, v75
	v_fmac_f16_e32 v19, v9, v104
	v_mul_f16_sdwa v81, v11, v116 dst_sel:DWORD dst_unused:UNUSED_PAD src0_sel:WORD_1 src1_sel:DWORD
	v_fma_f16 v15, v9, v109, -v8
	v_lshrrev_b32_e32 v9, 16, v106
	v_fmac_f16_e32 v80, v10, v111
	v_fma_f16 v10, v10, v3, -v117
	v_lshrrev_b32_e32 v104, 16, v105
	v_mul_f16_sdwa v109, v11, v87 dst_sel:DWORD dst_unused:UNUSED_PAD src0_sel:WORD_1 src1_sel:DWORD
	v_fmac_f16_e32 v81, v11, v87
	v_mul_f16_sdwa v3, v4, v9 dst_sel:DWORD dst_unused:UNUSED_PAD src0_sel:WORD_1 src1_sel:DWORD
	v_mul_f16_sdwa v87, v4, v106 dst_sel:DWORD dst_unused:UNUSED_PAD src0_sel:WORD_1 src1_sel:DWORD
	;; [unrolled: 1-line block ×3, first 2 shown]
	v_sub_f16_e32 v111, v86, v78
	v_fma_f16 v11, v11, v116, -v109
	v_fmac_f16_e32 v3, v4, v106
	v_fma_f16 v4, v4, v9, -v87
	v_mul_f16_sdwa v87, v5, v105 dst_sel:DWORD dst_unused:UNUSED_PAD src0_sel:WORD_1 src1_sel:DWORD
	v_sub_f16_e32 v106, v75, v77
	v_lshrrev_b32_e32 v109, 16, v2
	v_fmac_f16_e32 v8, v5, v105
	v_lshrrev_b32_e32 v105, 16, v108
	v_fma_f16 v5, v5, v104, -v87
	v_add_f16_e32 v104, v106, v111
	v_lshrrev_b32_e32 v111, 16, v112
	v_mul_f16_sdwa v9, v6, v109 dst_sel:DWORD dst_unused:UNUSED_PAD src0_sel:WORD_1 src1_sel:DWORD
	v_mul_f16_sdwa v87, v6, v2 dst_sel:DWORD dst_unused:UNUSED_PAD src0_sel:WORD_1 src1_sel:DWORD
	v_sub_f16_e32 v106, v76, v79
	v_sub_f16_e32 v117, v83, v82
	v_add_f16_e32 v120, v111, v76
	v_fmac_f16_e32 v9, v6, v2
	v_mul_f16_sdwa v2, v7, v105 dst_sel:DWORD dst_unused:UNUSED_PAD src0_sel:WORD_1 src1_sel:DWORD
	v_add_f16_e32 v119, v119, v77
	v_add_f16_e32 v116, v77, v78
	;; [unrolled: 1-line block ×4, first 2 shown]
	v_fmac_f16_e32 v2, v7, v108
	v_add_f16_e32 v117, v119, v78
	v_fma_f16 v116, -0.5, v116, v112
	v_add_f16_e32 v119, v120, v82
	v_mul_f16_sdwa v120, v7, v108 dst_sel:DWORD dst_unused:UNUSED_PAD src0_sel:WORD_1 src1_sel:DWORD
	v_add_f16_e32 v108, v75, v86
	v_sub_f16_e32 v75, v77, v75
	v_sub_f16_e32 v77, v78, v86
	v_add_f16_e32 v78, v76, v83
	v_sub_f16_e32 v121, v76, v83
	v_fma_f16 v118, -0.5, v118, v111
	v_sub_f16_e32 v124, v79, v82
	v_fmac_f16_e32 v112, -0.5, v108
	v_fmac_f16_e32 v111, -0.5, v78
	v_fmamk_f16 v123, v121, 0xbb9c, v116
	v_fmamk_f16 v125, v122, 0x3b9c, v118
	v_add_f16_e32 v75, v75, v77
	v_sub_f16_e32 v76, v79, v76
	v_fmamk_f16 v77, v124, 0x3b9c, v112
	v_sub_f16_e32 v78, v82, v83
	v_fmamk_f16 v79, v126, 0xbb9c, v111
	v_fmac_f16_e32 v123, 0xb8b4, v124
	v_fmac_f16_e32 v125, 0x38b4, v126
	v_fmac_f16_e32 v77, 0xb8b4, v121
	v_add_f16_e32 v76, v76, v78
	v_fmac_f16_e32 v79, 0x38b4, v122
	v_fmac_f16_e32 v112, 0xbb9c, v124
	;; [unrolled: 1-line block ×3, first 2 shown]
	v_add_f16_e32 v117, v117, v86
	v_add_f16_e32 v119, v119, v83
	v_fmac_f16_e32 v123, 0x34f2, v104
	v_fmac_f16_e32 v125, 0x34f2, v106
	;; [unrolled: 1-line block ×7, first 2 shown]
	v_fma_f16 v6, v6, v109, -v87
	v_fma_f16 v7, v7, v105, -v120
	v_pack_b32_f16 v87, v117, v119
	v_pack_b32_f16 v105, v123, v125
	v_fmac_f16_e32 v116, 0x38b4, v124
	v_pack_b32_f16 v77, v77, v79
	v_lshrrev_b32_e32 v79, 16, v12
	v_add_f16_e32 v82, v18, v113
	v_add_f16_e32 v86, v110, v107
	v_fmac_f16_e32 v112, 0x34f2, v75
	v_fmac_f16_e32 v111, 0x34f2, v76
	s_barrier
	buffer_gl0_inv
	ds_write2_b32 v94, v87, v105 offset1:20
	v_sub_f16_e32 v75, v17, v18
	v_sub_f16_e32 v76, v115, v113
	v_fmac_f16_e32 v116, 0x34f2, v104
	v_add_f16_e32 v87, v12, v17
	v_add_f16_e32 v104, v79, v16
	v_fma_f16 v82, -0.5, v82, v12
	v_sub_f16_e32 v105, v16, v114
	v_fma_f16 v86, -0.5, v86, v79
	v_sub_f16_e32 v108, v17, v115
	v_fmac_f16_e32 v118, 0xbb9c, v122
	v_pack_b32_f16 v78, v112, v111
	v_add_f16_e32 v75, v75, v76
	v_sub_f16_e32 v76, v16, v110
	v_sub_f16_e32 v83, v114, v107
	v_add_f16_e32 v87, v87, v18
	v_add_f16_e32 v104, v104, v110
	v_fmamk_f16 v109, v105, 0xbb9c, v82
	v_sub_f16_e32 v111, v110, v107
	v_fmamk_f16 v112, v108, 0x3b9c, v86
	v_sub_f16_e32 v117, v18, v113
	v_fmac_f16_e32 v118, 0xb8b4, v126
	ds_write2_b32 v94, v77, v78 offset0:40 offset1:60
	v_add_f16_e32 v77, v17, v115
	v_add_f16_e32 v76, v76, v83
	;; [unrolled: 1-line block ×4, first 2 shown]
	v_fmac_f16_e32 v109, 0xb8b4, v111
	v_fmac_f16_e32 v112, 0x38b4, v117
	;; [unrolled: 1-line block ×3, first 2 shown]
	v_fmac_f16_e32 v12, -0.5, v77
	v_add_f16_e32 v77, v16, v114
	v_add_f16_e32 v83, v83, v115
	;; [unrolled: 1-line block ×3, first 2 shown]
	v_fmac_f16_e32 v109, 0x34f2, v75
	v_fmac_f16_e32 v112, 0x34f2, v76
	v_pack_b32_f16 v78, v116, v118
	v_sub_f16_e32 v17, v18, v17
	v_sub_f16_e32 v18, v113, v115
	v_fmac_f16_e32 v79, -0.5, v77
	v_pack_b32_f16 v83, v83, v87
	v_pack_b32_f16 v87, v109, v112
	ds_write_b32 v94, v78 offset:320
	ds_write2_b32 v92, v83, v87 offset1:20
	v_fmamk_f16 v78, v111, 0x3b9c, v12
	v_add_f16_e32 v17, v17, v18
	v_sub_f16_e32 v16, v110, v16
	v_fmac_f16_e32 v12, 0xbb9c, v111
	v_sub_f16_e32 v18, v107, v114
	v_fmamk_f16 v77, v117, 0xbb9c, v79
	v_fmac_f16_e32 v79, 0x3b9c, v117
	v_fmac_f16_e32 v82, 0x3b9c, v105
	;; [unrolled: 1-line block ×3, first 2 shown]
	v_add_f16_e32 v16, v16, v18
	v_fmac_f16_e32 v78, 0xb8b4, v105
	v_fmac_f16_e32 v79, 0xb8b4, v108
	;; [unrolled: 1-line block ×8, first 2 shown]
	v_lshrrev_b32_e32 v75, 16, v1
	v_fmac_f16_e32 v77, 0x34f2, v16
	v_sub_f16_e32 v16, v14, v19
	v_pack_b32_f16 v12, v12, v79
	v_add_f16_e32 v79, v1, v14
	v_add_f16_e32 v83, v75, v13
	v_sub_f16_e32 v17, v81, v80
	v_fmac_f16_e32 v86, 0xbb9c, v108
	v_pack_b32_f16 v18, v78, v77
	v_add_f16_e32 v79, v79, v19
	v_add_f16_e32 v83, v83, v15
	;; [unrolled: 1-line block ×3, first 2 shown]
	v_sub_f16_e32 v17, v13, v15
	v_sub_f16_e32 v77, v11, v10
	v_add_f16_e32 v79, v79, v80
	v_add_f16_e32 v83, v83, v10
	v_fmac_f16_e32 v86, 0xb8b4, v117
	v_add_f16_e32 v78, v15, v10
	v_add_f16_e32 v17, v17, v77
	;; [unrolled: 1-line block ×4, first 2 shown]
	v_fmac_f16_e32 v86, 0x34f2, v76
	v_add_f16_e32 v76, v19, v80
	v_add_f16_e32 v83, v14, v81
	ds_write2_b32 v92, v18, v12 offset0:40 offset1:60
	v_pack_b32_f16 v18, v77, v79
	v_add_f16_e32 v79, v13, v11
	v_fma_f16 v76, -0.5, v76, v1
	v_fma_f16 v78, -0.5, v78, v75
	v_sub_f16_e32 v105, v15, v10
	v_sub_f16_e32 v107, v19, v80
	v_pack_b32_f16 v12, v82, v86
	v_fmac_f16_e32 v1, -0.5, v83
	v_fmac_f16_e32 v75, -0.5, v79
	v_sub_f16_e32 v87, v13, v11
	v_sub_f16_e32 v94, v14, v81
	;; [unrolled: 1-line block ×4, first 2 shown]
	ds_write_b32 v92, v12 offset:320
	v_fmamk_f16 v12, v105, 0x3b9c, v1
	v_sub_f16_e32 v13, v15, v13
	v_sub_f16_e32 v10, v10, v11
	v_fmamk_f16 v11, v107, 0xbb9c, v75
	v_fmamk_f16 v104, v87, 0xbb9c, v76
	;; [unrolled: 1-line block ×3, first 2 shown]
	v_add_f16_e32 v14, v14, v19
	v_fmac_f16_e32 v12, 0xb8b4, v87
	v_fmac_f16_e32 v75, 0x3b9c, v107
	v_add_f16_e32 v10, v13, v10
	v_fmac_f16_e32 v11, 0x38b4, v94
	v_fmac_f16_e32 v104, 0xb8b4, v105
	;; [unrolled: 1-line block ×13, first 2 shown]
	v_sub_f16_e32 v10, v3, v8
	v_sub_f16_e32 v13, v2, v9
	v_pack_b32_f16 v11, v12, v11
	v_add_f16_e32 v12, v8, v9
	v_pack_b32_f16 v77, v104, v106
	v_fmac_f16_e32 v76, 0x38b4, v105
	v_fmac_f16_e32 v78, 0xb8b4, v107
	;; [unrolled: 1-line block ×3, first 2 shown]
	v_add_f16_e32 v10, v10, v13
	v_add_f16_e32 v13, v3, v2
	v_fma_f16 v12, -0.5, v12, v0
	v_sub_f16_e32 v15, v4, v7
	ds_write2_b32 v89, v18, v77 offset1:20
	v_fmac_f16_e32 v76, 0x34f2, v16
	v_fmac_f16_e32 v78, 0x34f2, v17
	v_pack_b32_f16 v1, v1, v75
	v_lshrrev_b32_e32 v16, 16, v0
	v_add_f16_e32 v17, v0, v3
	v_fmac_f16_e32 v0, -0.5, v13
	v_sub_f16_e32 v13, v5, v6
	v_fmamk_f16 v18, v15, 0xbb9c, v12
	v_fmac_f16_e32 v12, 0x3b9c, v15
	v_sub_f16_e32 v19, v8, v3
	v_sub_f16_e32 v75, v9, v2
	v_pack_b32_f16 v14, v76, v78
	v_fmamk_f16 v76, v13, 0x3b9c, v0
	v_fmac_f16_e32 v18, 0xb8b4, v13
	v_fmac_f16_e32 v0, 0xbb9c, v13
	;; [unrolled: 1-line block ×3, first 2 shown]
	v_add_f16_e32 v13, v19, v75
	v_add_f16_e32 v19, v16, v4
	v_fmac_f16_e32 v76, 0xb8b4, v15
	v_fmac_f16_e32 v0, 0x38b4, v15
	;; [unrolled: 1-line block ×3, first 2 shown]
	v_add_f16_e32 v15, v17, v8
	v_fmac_f16_e32 v12, 0x34f2, v10
	v_add_f16_e32 v10, v19, v5
	v_fmac_f16_e32 v76, 0x34f2, v13
	v_fmac_f16_e32 v0, 0x34f2, v13
	v_add_f16_e32 v13, v15, v9
	v_sub_f16_e32 v8, v8, v9
	v_add_f16_e32 v9, v10, v6
	v_add_f16_e32 v10, v5, v6
	;; [unrolled: 1-line block ×3, first 2 shown]
	v_sub_f16_e32 v3, v3, v2
	v_sub_f16_e32 v15, v4, v5
	;; [unrolled: 1-line block ×3, first 2 shown]
	v_fma_f16 v10, -0.5, v10, v16
	v_sub_f16_e32 v5, v7, v6
	v_fmac_f16_e32 v16, -0.5, v17
	v_add_f16_e32 v9, v9, v7
	v_sub_f16_e32 v6, v6, v7
	v_fmamk_f16 v7, v3, 0x3b9c, v10
	v_add_f16_e32 v5, v15, v5
	v_fmamk_f16 v15, v8, 0xbb9c, v16
	v_fmac_f16_e32 v16, 0x3b9c, v8
	v_fmac_f16_e32 v10, 0xbb9c, v3
	;; [unrolled: 1-line block ×3, first 2 shown]
	v_add_f16_e32 v4, v4, v6
	v_fmac_f16_e32 v15, 0x38b4, v3
	v_fmac_f16_e32 v16, 0xb8b4, v3
	;; [unrolled: 1-line block ×3, first 2 shown]
	v_add_f16_e32 v2, v13, v2
	v_fmac_f16_e32 v7, 0x34f2, v5
	v_fmac_f16_e32 v15, 0x34f2, v4
	;; [unrolled: 1-line block ×4, first 2 shown]
	v_pack_b32_f16 v2, v2, v9
	v_pack_b32_f16 v3, v18, v7
	;; [unrolled: 1-line block ×5, first 2 shown]
	ds_write2_b32 v89, v11, v1 offset0:40 offset1:60
	ds_write_b32 v89, v14 offset:320
	ds_write2_b32 v88, v2, v3 offset1:20
	ds_write2_b32 v88, v4, v0 offset0:40 offset1:60
	ds_write_b32 v88, v5 offset:320
	s_waitcnt lgkmcnt(0)
	s_barrier
	buffer_gl0_inv
	ds_read_b32 v1, v67 offset:4000
	ds_read_b32 v2, v67 offset:8000
	;; [unrolled: 1-line block ×12, first 2 shown]
	s_waitcnt lgkmcnt(11)
	v_lshrrev_b32_e32 v5, 16, v1
	s_waitcnt lgkmcnt(10)
	v_lshrrev_b32_e32 v7, 16, v2
	v_mul_f16_sdwa v8, v44, v1 dst_sel:DWORD dst_unused:UNUSED_PAD src0_sel:WORD_1 src1_sel:DWORD
	s_waitcnt lgkmcnt(9)
	v_lshrrev_b32_e32 v17, 16, v3
	v_mul_f16_sdwa v11, v45, v2 dst_sel:DWORD dst_unused:UNUSED_PAD src0_sel:WORD_1 src1_sel:DWORD
	v_mul_f16_sdwa v10, v44, v5 dst_sel:DWORD dst_unused:UNUSED_PAD src0_sel:WORD_1 src1_sel:DWORD
	;; [unrolled: 1-line block ×3, first 2 shown]
	v_fma_f16 v13, v44, v5, -v8
	ds_read_b32 v5, v67 offset:32000
	v_mul_f16_sdwa v16, v46, v17 dst_sel:DWORD dst_unused:UNUSED_PAD src0_sel:WORD_1 src1_sel:DWORD
	v_fmac_f16_e32 v10, v44, v1
	ds_read_b32 v1, v67 offset:28000
	v_fmac_f16_e32 v15, v45, v2
	s_waitcnt lgkmcnt(8)
	v_lshrrev_b32_e32 v2, 16, v6
	v_fma_f16 v18, v45, v7, -v11
	v_mul_f16_sdwa v7, v46, v3 dst_sel:DWORD dst_unused:UNUSED_PAD src0_sel:WORD_1 src1_sel:DWORD
	v_fmac_f16_e32 v16, v46, v3
	v_mul_f16_sdwa v3, v47, v6 dst_sel:DWORD dst_unused:UNUSED_PAD src0_sel:WORD_1 src1_sel:DWORD
	v_mul_f16_sdwa v75, v47, v2 dst_sel:DWORD dst_unused:UNUSED_PAD src0_sel:WORD_1 src1_sel:DWORD
	s_waitcnt lgkmcnt(7)
	v_lshrrev_b32_e32 v8, 16, v9
	v_fma_f16 v17, v46, v17, -v7
	s_waitcnt lgkmcnt(6)
	v_lshrrev_b32_e32 v7, 16, v12
	ds_read_b32 v80, v67 offset:30000
	ds_read_b32 v81, v67 offset:26000
	v_fmac_f16_e32 v75, v47, v6
	v_fma_f16 v47, v47, v2, -v3
	v_mul_f16_sdwa v2, v48, v9 dst_sel:DWORD dst_unused:UNUSED_PAD src0_sel:WORD_1 src1_sel:DWORD
	v_mul_f16_sdwa v44, v48, v8 dst_sel:DWORD dst_unused:UNUSED_PAD src0_sel:WORD_1 src1_sel:DWORD
	;; [unrolled: 1-line block ×4, first 2 shown]
	v_sub_f16_e32 v94, v18, v47
	v_fma_f16 v19, v48, v8, -v2
	s_waitcnt lgkmcnt(2)
	v_lshrrev_b32_e32 v3, 16, v1
	v_lshrrev_b32_e32 v2, 16, v5
	v_fmac_f16_e32 v44, v48, v9
	v_fmac_f16_e32 v76, v49, v12
	v_fma_f16 v48, v49, v7, -v6
	v_mul_f16_sdwa v45, v50, v3 dst_sel:DWORD dst_unused:UNUSED_PAD src0_sel:WORD_1 src1_sel:DWORD
	v_mul_f16_sdwa v49, v51, v2 dst_sel:DWORD dst_unused:UNUSED_PAD src0_sel:WORD_1 src1_sel:DWORD
	;; [unrolled: 1-line block ×3, first 2 shown]
	v_lshrrev_b32_e32 v7, 16, v4
	v_mul_f16_sdwa v8, v41, v79 dst_sel:DWORD dst_unused:UNUSED_PAD src0_sel:WORD_1 src1_sel:DWORD
	v_fmac_f16_e32 v45, v50, v1
	v_mul_f16_sdwa v1, v51, v5 dst_sel:DWORD dst_unused:UNUSED_PAD src0_sel:WORD_1 src1_sel:DWORD
	v_fmac_f16_e32 v49, v51, v5
	v_lshrrev_b32_e32 v5, 16, v78
	v_fma_f16 v46, v50, v3, -v6
	v_lshrrev_b32_e32 v6, 16, v79
	v_fma_f16 v50, v51, v2, -v1
	v_mul_f16_sdwa v1, v40, v7 dst_sel:DWORD dst_unused:UNUSED_PAD src0_sel:WORD_1 src1_sel:DWORD
	v_mul_f16_sdwa v3, v42, v5 dst_sel:DWORD dst_unused:UNUSED_PAD src0_sel:WORD_1 src1_sel:DWORD
	;; [unrolled: 1-line block ×3, first 2 shown]
	ds_read_b32 v51, v67 offset:34000
	v_mul_f16_sdwa v9, v41, v6 dst_sel:DWORD dst_unused:UNUSED_PAD src0_sel:WORD_1 src1_sel:DWORD
	v_fmac_f16_e32 v1, v40, v4
	v_mul_f16_sdwa v4, v42, v78 dst_sel:DWORD dst_unused:UNUSED_PAD src0_sel:WORD_1 src1_sel:DWORD
	v_fmac_f16_e32 v3, v42, v78
	ds_read_b32 v78, v67 offset:36000
	v_fma_f16 v2, v40, v7, -v2
	v_lshrrev_b32_e32 v7, 16, v14
	v_fmac_f16_e32 v9, v41, v79
	v_fma_f16 v8, v41, v6, -v8
	v_lshrrev_b32_e32 v40, 16, v77
	s_waitcnt lgkmcnt(2)
	v_lshrrev_b32_e32 v41, 16, v81
	v_mul_f16_sdwa v12, v43, v7 dst_sel:DWORD dst_unused:UNUSED_PAD src0_sel:WORD_1 src1_sel:DWORD
	v_fma_f16 v4, v42, v5, -v4
	v_mul_f16_sdwa v5, v43, v14 dst_sel:DWORD dst_unused:UNUSED_PAD src0_sel:WORD_1 src1_sel:DWORD
	v_mul_f16_sdwa v6, v20, v40 dst_sel:DWORD dst_unused:UNUSED_PAD src0_sel:WORD_1 src1_sel:DWORD
	;; [unrolled: 1-line block ×3, first 2 shown]
	v_fmac_f16_e32 v12, v43, v14
	v_mul_f16_sdwa v14, v21, v41 dst_sel:DWORD dst_unused:UNUSED_PAD src0_sel:WORD_1 src1_sel:DWORD
	v_fma_f16 v11, v43, v7, -v5
	v_lshrrev_b32_e32 v43, 16, v80
	v_fmac_f16_e32 v6, v20, v77
	v_fma_f16 v5, v20, v40, -v42
	v_mul_f16_sdwa v40, v21, v81 dst_sel:DWORD dst_unused:UNUSED_PAD src0_sel:WORD_1 src1_sel:DWORD
	v_fmac_f16_e32 v14, v21, v81
	ds_read_b32 v20, v67 offset:38000
	ds_read_b32 v42, v67
	s_waitcnt lgkmcnt(2)
	v_lshrrev_b32_e32 v81, 16, v78
	v_mul_f16_sdwa v7, v22, v43 dst_sel:DWORD dst_unused:UNUSED_PAD src0_sel:WORD_1 src1_sel:DWORD
	v_lshrrev_b32_e32 v77, 16, v51
	v_mul_f16_sdwa v79, v22, v80 dst_sel:DWORD dst_unused:UNUSED_PAD src0_sel:WORD_1 src1_sel:DWORD
	v_fma_f16 v40, v21, v41, -v40
	v_mul_f16_sdwa v82, v95, v81 dst_sel:DWORD dst_unused:UNUSED_PAD src0_sel:WORD_1 src1_sel:DWORD
	v_fmac_f16_e32 v7, v22, v80
	v_mul_f16_sdwa v41, v23, v77 dst_sel:DWORD dst_unused:UNUSED_PAD src0_sel:WORD_1 src1_sel:DWORD
	v_mul_f16_sdwa v80, v23, v51 dst_sel:DWORD dst_unused:UNUSED_PAD src0_sel:WORD_1 src1_sel:DWORD
	;; [unrolled: 1-line block ×3, first 2 shown]
	v_fmac_f16_e32 v82, v95, v78
	v_fma_f16 v21, v22, v43, -v79
	v_fmac_f16_e32 v41, v23, v51
	v_fma_f16 v22, v23, v77, -v80
	v_fma_f16 v23, v95, v81, -v83
	v_sub_f16_e32 v78, v16, v44
	v_sub_f16_e32 v89, v82, v45
	;; [unrolled: 1-line block ×5, first 2 shown]
	v_add_f16_e32 v107, v75, v76
	v_add_f16_e32 v78, v78, v89
	;; [unrolled: 1-line block ×3, first 2 shown]
	s_waitcnt lgkmcnt(0)
	v_add_f16_e32 v95, v42, v15
	v_add_f16_e32 v51, v51, v77
	v_lshrrev_b32_e32 v77, 16, v42
	v_add_f16_e32 v117, v15, v49
	v_fma_f16 v107, -0.5, v107, v42
	v_add_f16_e32 v95, v95, v75
	v_sub_f16_e32 v112, v47, v48
	v_add_f16_e32 v104, v77, v18
	v_fmac_f16_e32 v42, -0.5, v117
	v_add_f16_e32 v43, v19, v46
	v_add_f16_e32 v95, v95, v76
	v_sub_f16_e32 v109, v18, v50
	v_add_f16_e32 v104, v104, v47
	v_sub_f16_e32 v110, v15, v49
	v_sub_f16_e32 v116, v75, v76
	v_add_f16_e32 v95, v95, v49
	v_sub_f16_e32 v15, v75, v15
	v_sub_f16_e32 v49, v76, v49
	v_fmamk_f16 v76, v112, 0x3b9c, v42
	v_fmac_f16_e32 v42, 0xbb9c, v112
	v_add_f16_e32 v79, v44, v45
	v_fma_f16 v43, -0.5, v43, v13
	v_sub_f16_e32 v80, v16, v82
	v_add_f16_e32 v104, v104, v48
	v_add_f16_e32 v108, v47, v48
	;; [unrolled: 1-line block ×3, first 2 shown]
	v_sub_f16_e32 v47, v47, v18
	v_fmac_f16_e32 v76, 0xb8b4, v109
	v_fmac_f16_e32 v42, 0x38b4, v109
	v_sub_f16_e32 v48, v48, v50
	v_sub_f16_e32 v81, v17, v19
	;; [unrolled: 1-line block ×3, first 2 shown]
	v_fma_f16 v79, -0.5, v79, v10
	v_sub_f16_e32 v86, v17, v23
	v_fmamk_f16 v87, v80, 0x3b9c, v43
	v_sub_f16_e32 v88, v44, v45
	v_add_f16_e32 v106, v13, v17
	v_add_f16_e32 v18, v18, v50
	v_fmac_f16_e32 v76, 0x34f2, v15
	v_fmac_f16_e32 v42, 0x34f2, v15
	v_add_f16_e32 v15, v47, v48
	v_add_f16_e32 v47, v17, v23
	;; [unrolled: 1-line block ×3, first 2 shown]
	v_fmamk_f16 v83, v86, 0xbb9c, v79
	v_sub_f16_e32 v92, v19, v46
	v_fmac_f16_e32 v87, 0x38b4, v88
	v_add_f16_e32 v105, v10, v16
	v_add_f16_e32 v106, v106, v19
	v_fma_f16 v108, -0.5, v108, v77
	v_fmac_f16_e32 v77, -0.5, v18
	v_sub_f16_e32 v18, v44, v16
	v_add_f16_e32 v16, v16, v82
	v_fmac_f16_e32 v13, -0.5, v47
	v_fmac_f16_e32 v83, 0xb8b4, v92
	v_fmac_f16_e32 v87, 0x34f2, v81
	v_add_f16_e32 v105, v105, v44
	v_add_f16_e32 v106, v106, v46
	v_fmamk_f16 v111, v109, 0xbb9c, v107
	v_fmamk_f16 v115, v110, 0x3b9c, v108
	v_fmac_f16_e32 v10, -0.5, v16
	v_sub_f16_e32 v16, v19, v17
	v_sub_f16_e32 v17, v46, v23
	v_fmamk_f16 v19, v88, 0xbb9c, v13
	v_fmac_f16_e32 v13, 0x3b9c, v88
	v_fmac_f16_e32 v83, 0x34f2, v78
	v_mul_f16_e32 v94, 0xb8b4, v87
	v_mul_f16_e32 v87, 0x3a79, v87
	v_add_f16_e32 v105, v105, v45
	v_add_f16_e32 v106, v106, v23
	v_fmac_f16_e32 v111, 0xb8b4, v112
	v_fmac_f16_e32 v115, 0x38b4, v116
	v_sub_f16_e32 v45, v45, v82
	v_fmamk_f16 v23, v92, 0x3b9c, v10
	v_fmac_f16_e32 v10, 0xbb9c, v92
	v_add_f16_e32 v16, v16, v17
	v_fmac_f16_e32 v13, 0xb8b4, v80
	v_fmac_f16_e32 v94, 0x3a79, v83
	;; [unrolled: 1-line block ×6, first 2 shown]
	v_add_f16_e32 v17, v18, v45
	v_fmac_f16_e32 v10, 0x38b4, v86
	v_fmac_f16_e32 v13, 0x34f2, v16
	v_add_f16_e32 v75, v111, v94
	v_add_f16_e32 v49, v115, v87
	v_fmamk_f16 v44, v116, 0xbb9c, v77
	v_fmac_f16_e32 v23, 0xb8b4, v86
	v_fmac_f16_e32 v19, 0x34f2, v16
	;; [unrolled: 1-line block ×3, first 2 shown]
	v_mul_f16_e32 v18, 0xbb9c, v13
	v_mul_f16_e32 v13, 0xb4f2, v13
	v_fmac_f16_e32 v77, 0x3b9c, v116
	v_fmac_f16_e32 v44, 0x38b4, v110
	;; [unrolled: 1-line block ×3, first 2 shown]
	v_mul_f16_e32 v16, 0xbb9c, v19
	v_mul_f16_e32 v17, 0x34f2, v19
	v_fmac_f16_e32 v18, 0xb4f2, v10
	v_fmac_f16_e32 v13, 0x3b9c, v10
	v_pack_b32_f16 v10, v75, v49
	v_fmac_f16_e32 v107, 0x3b9c, v109
	v_sub_f16_e32 v48, v9, v12
	v_sub_f16_e32 v49, v41, v14
	v_fmac_f16_e32 v77, 0xb8b4, v110
	v_fmac_f16_e32 v44, 0x34f2, v15
	;; [unrolled: 1-line block ×6, first 2 shown]
	v_add_f16_e32 v47, v12, v14
	v_add_f16_e32 v48, v48, v49
	v_add_f16_e32 v49, v9, v41
	v_add_f16_e32 v104, v104, v50
	v_fmac_f16_e32 v77, 0x34f2, v15
	v_add_f16_e32 v15, v76, v16
	v_add_f16_e32 v19, v44, v17
	v_fmac_f16_e32 v79, 0x38b4, v92
	v_fmac_f16_e32 v107, 0x34f2, v51
	v_sub_f16_e32 v16, v76, v16
	v_sub_f16_e32 v17, v44, v17
	v_fma_f16 v44, -0.5, v47, v0
	v_lshrrev_b32_e32 v50, 16, v0
	v_add_f16_e32 v51, v0, v9
	v_sub_f16_e32 v76, v11, v40
	v_fmac_f16_e32 v0, -0.5, v49
	v_add_f16_e32 v45, v77, v13
	v_fmac_f16_e32 v79, 0x34f2, v78
	v_sub_f16_e32 v13, v77, v13
	v_sub_f16_e32 v47, v8, v22
	;; [unrolled: 1-line block ×4, first 2 shown]
	v_fmamk_f16 v78, v76, 0x3b9c, v0
	v_fmac_f16_e32 v0, 0xbb9c, v76
	v_fmamk_f16 v75, v47, 0xbb9c, v44
	v_fmac_f16_e32 v44, 0x3b9c, v47
	v_add_f16_e32 v49, v49, v77
	v_add_f16_e32 v51, v51, v12
	v_fmac_f16_e32 v78, 0xb8b4, v47
	v_fmac_f16_e32 v0, 0x38b4, v47
	;; [unrolled: 1-line block ×4, first 2 shown]
	v_add_f16_e32 v51, v51, v14
	v_fmac_f16_e32 v78, 0x34f2, v49
	v_fmac_f16_e32 v0, 0x34f2, v49
	v_add_f16_e32 v49, v50, v8
	v_add_f16_e32 v105, v105, v82
	;; [unrolled: 1-line block ×3, first 2 shown]
	v_lshrrev_b32_e32 v46, 16, v20
	v_fmac_f16_e32 v75, 0x34f2, v48
	v_fmac_f16_e32 v44, 0x34f2, v48
	v_add_f16_e32 v48, v51, v41
	v_add_f16_e32 v51, v11, v40
	;; [unrolled: 1-line block ×3, first 2 shown]
	v_sub_f16_e32 v12, v12, v14
	v_add_f16_e32 v14, v8, v22
	v_add_f16_e32 v113, v95, v105
	v_add_f16_e32 v114, v104, v106
	v_pack_b32_f16 v15, v15, v19
	v_pack_b32_f16 v19, v23, v45
	v_fmac_f16_e32 v43, 0xbb9c, v80
	v_mul_f16_sdwa v23, v90, v46 dst_sel:DWORD dst_unused:UNUSED_PAD src0_sel:WORD_1 src1_sel:DWORD
	v_sub_f16_e32 v9, v9, v41
	v_sub_f16_e32 v41, v8, v11
	;; [unrolled: 1-line block ×3, first 2 shown]
	v_fma_f16 v51, -0.5, v51, v50
	v_add_f16_e32 v49, v49, v40
	v_fmac_f16_e32 v50, -0.5, v14
	v_pack_b32_f16 v83, v113, v114
	v_fmac_f16_e32 v43, 0xb8b4, v88
	v_fmac_f16_e32 v23, v90, v20
	v_add_f16_e32 v41, v41, v76
	v_fmamk_f16 v76, v9, 0x3b9c, v51
	v_fmac_f16_e32 v51, 0xbb9c, v9
	v_sub_f16_e32 v8, v11, v8
	v_add_f16_e32 v11, v49, v22
	v_sub_f16_e32 v14, v40, v22
	v_fmamk_f16 v22, v12, 0xbb9c, v50
	v_fmac_f16_e32 v50, 0x3b9c, v12
	s_barrier
	buffer_gl0_inv
	ds_write2_b32 v91, v83, v10 offset1:100
	ds_write2_b32 v93, v15, v19 offset0:72 offset1:172
	v_fmac_f16_e32 v43, 0x34f2, v81
	v_mul_f16_sdwa v10, v90, v20 dst_sel:DWORD dst_unused:UNUSED_PAD src0_sel:WORD_1 src1_sel:DWORD
	v_fmac_f16_e32 v76, 0x38b4, v12
	v_fmac_f16_e32 v51, 0xb8b4, v12
	v_add_f16_e32 v12, v6, v7
	v_add_f16_e32 v8, v8, v14
	v_fmac_f16_e32 v22, 0x38b4, v9
	v_sub_f16_e32 v14, v3, v6
	v_sub_f16_e32 v40, v23, v7
	v_fmac_f16_e32 v50, 0xb8b4, v9
	v_add_f16_e32 v9, v3, v23
	v_mul_f16_e32 v15, 0xb8b4, v43
	v_mul_f16_e32 v19, 0xba79, v43
	v_fma_f16 v10, v90, v46, -v10
	v_fma_f16 v12, -0.5, v12, v1
	v_add_f16_e32 v14, v14, v40
	v_add_f16_e32 v40, v1, v3
	v_sub_f16_e32 v77, v5, v21
	v_fmac_f16_e32 v1, -0.5, v9
	v_fmac_f16_e32 v15, 0xba79, v79
	v_fmac_f16_e32 v19, 0x38b4, v79
	;; [unrolled: 1-line block ×4, first 2 shown]
	v_sub_f16_e32 v41, v4, v10
	v_sub_f16_e32 v9, v6, v3
	;; [unrolled: 1-line block ×3, first 2 shown]
	v_fmamk_f16 v80, v77, 0x3b9c, v1
	v_fmac_f16_e32 v1, 0xbb9c, v77
	v_fmamk_f16 v49, v41, 0xbb9c, v12
	v_fmac_f16_e32 v12, 0x3b9c, v41
	v_add_f16_e32 v9, v9, v79
	v_add_f16_e32 v40, v40, v6
	v_fmac_f16_e32 v80, 0xb8b4, v41
	v_fmac_f16_e32 v1, 0x38b4, v41
	;; [unrolled: 1-line block ×6, first 2 shown]
	v_add_f16_e32 v8, v40, v7
	v_fmac_f16_e32 v80, 0x34f2, v9
	v_fmac_f16_e32 v1, 0x34f2, v9
	v_add_f16_e32 v9, v5, v21
	v_add_f16_e32 v40, v4, v10
	v_fmac_f16_e32 v49, 0x34f2, v14
	v_fmac_f16_e32 v12, 0x34f2, v14
	v_add_f16_e32 v8, v8, v23
	v_sub_f16_e32 v3, v3, v23
	v_sub_f16_e32 v14, v4, v5
	;; [unrolled: 1-line block ×3, first 2 shown]
	v_fma_f16 v9, -0.5, v9, v2
	v_add_f16_e32 v41, v2, v4
	v_sub_f16_e32 v6, v6, v7
	v_fmac_f16_e32 v2, -0.5, v40
	v_add_f16_e32 v7, v14, v23
	v_fmamk_f16 v23, v3, 0x3b9c, v9
	v_add_f16_e32 v14, v41, v5
	v_sub_f16_e32 v4, v5, v4
	v_sub_f16_e32 v5, v21, v10
	v_fmamk_f16 v40, v6, 0xbb9c, v2
	v_fmac_f16_e32 v2, 0x3b9c, v6
	v_fmac_f16_e32 v9, 0xbb9c, v3
	;; [unrolled: 1-line block ×4, first 2 shown]
	v_add_f16_e32 v4, v4, v5
	v_fmac_f16_e32 v40, 0x38b4, v3
	v_fmac_f16_e32 v2, 0xb8b4, v3
	;; [unrolled: 1-line block ×5, first 2 shown]
	v_add_f16_e32 v14, v14, v21
	v_fmac_f16_e32 v40, 0x34f2, v4
	v_fmac_f16_e32 v2, 0x34f2, v4
	;; [unrolled: 1-line block ×3, first 2 shown]
	v_mul_f16_e32 v3, 0xb8b4, v23
	v_mul_f16_e32 v6, 0x3a79, v23
	v_fmac_f16_e32 v108, 0x34f2, v89
	v_add_f16_e32 v5, v14, v10
	v_mul_f16_e32 v7, 0xbb9c, v40
	v_mul_f16_e32 v4, 0x34f2, v40
	;; [unrolled: 1-line block ×6, first 2 shown]
	v_fmac_f16_e32 v3, 0x3a79, v49
	v_fmac_f16_e32 v6, 0x38b4, v49
	v_sub_f16_e32 v20, v95, v105
	v_sub_f16_e32 v18, v42, v18
	v_add_f16_e32 v42, v107, v15
	v_sub_f16_e32 v45, v104, v106
	v_add_f16_e32 v47, v108, v19
	v_fmac_f16_e32 v7, 0x34f2, v80
	v_fmac_f16_e32 v4, 0x3b9c, v80
	v_fmac_f16_e32 v10, 0xb4f2, v1
	v_fmac_f16_e32 v2, 0x3b9c, v1
	v_sub_f16_e32 v43, v111, v94
	v_sub_f16_e32 v46, v115, v87
	v_fmac_f16_e32 v14, 0xba79, v12
	v_fmac_f16_e32 v9, 0x38b4, v12
	v_sub_f16_e32 v15, v107, v15
	v_sub_f16_e32 v19, v108, v19
	v_add_f16_e32 v1, v48, v8
	v_add_f16_e32 v12, v75, v3
	;; [unrolled: 1-line block ×3, first 2 shown]
	v_sub_f16_e32 v5, v11, v5
	v_add_f16_e32 v11, v76, v6
	v_add_f16_e32 v21, v78, v7
	;; [unrolled: 1-line block ×4, first 2 shown]
	v_sub_f16_e32 v4, v22, v4
	v_add_f16_e32 v22, v50, v2
	v_pack_b32_f16 v42, v42, v47
	v_pack_b32_f16 v20, v20, v45
	v_sub_f16_e32 v8, v48, v8
	v_sub_f16_e32 v0, v0, v10
	v_add_f16_e32 v10, v44, v14
	v_pack_b32_f16 v43, v43, v46
	v_pack_b32_f16 v16, v16, v17
	v_add_f16_e32 v17, v51, v9
	v_sub_f16_e32 v3, v75, v3
	v_sub_f16_e32 v7, v78, v7
	;; [unrolled: 1-line block ×3, first 2 shown]
	v_pack_b32_f16 v13, v18, v13
	v_pack_b32_f16 v15, v15, v19
	v_sub_f16_e32 v14, v44, v14
	v_sub_f16_e32 v2, v50, v2
	;; [unrolled: 1-line block ×3, first 2 shown]
	v_pack_b32_f16 v1, v1, v40
	v_pack_b32_f16 v11, v12, v11
	ds_write2_b32 v84, v42, v20 offset0:144 offset1:244
	ds_write2_b32 v85, v43, v16 offset0:88 offset1:188
	;; [unrolled: 1-line block ×3, first 2 shown]
	v_pack_b32_f16 v12, v21, v41
	v_pack_b32_f16 v13, v23, v22
	;; [unrolled: 1-line block ×8, first 2 shown]
	ds_write2_b32 v96, v1, v11 offset1:100
	ds_write2_b32 v98, v12, v13 offset0:72 offset1:172
	ds_write2_b32 v100, v10, v5 offset0:144 offset1:244
	;; [unrolled: 1-line block ×4, first 2 shown]
	s_waitcnt lgkmcnt(0)
	s_barrier
	buffer_gl0_inv
	ds_read_b32 v9, v67
	ds_read_b32 v2, v67 offset:4000
	ds_read_b32 v3, v67 offset:8000
	;; [unrolled: 1-line block ×19, first 2 shown]
	s_waitcnt lgkmcnt(19)
	v_lshrrev_b32_e32 v14, 16, v9
	s_waitcnt lgkmcnt(18)
	v_lshrrev_b32_e32 v15, 16, v2
	;; [unrolled: 2-line block ×4, first 2 shown]
	v_mul_f16_sdwa v48, v32, v2 dst_sel:DWORD dst_unused:UNUSED_PAD src0_sel:WORD_1 src1_sel:DWORD
	s_waitcnt lgkmcnt(15)
	v_lshrrev_b32_e32 v22, 16, v5
	v_mul_f16_sdwa v46, v32, v15 dst_sel:DWORD dst_unused:UNUSED_PAD src0_sel:WORD_1 src1_sel:DWORD
	v_mul_f16_sdwa v49, v33, v16 dst_sel:DWORD dst_unused:UNUSED_PAD src0_sel:WORD_1 src1_sel:DWORD
	s_waitcnt lgkmcnt(14)
	v_lshrrev_b32_e32 v23, 16, v6
	s_waitcnt lgkmcnt(13)
	v_lshrrev_b32_e32 v40, 16, v7
	v_fma_f16 v15, v32, v15, -v48
	v_fmac_f16_e32 v46, v32, v2
	v_mul_f16_sdwa v2, v33, v3 dst_sel:DWORD dst_unused:UNUSED_PAD src0_sel:WORD_1 src1_sel:DWORD
	v_mul_f16_sdwa v32, v34, v21 dst_sel:DWORD dst_unused:UNUSED_PAD src0_sel:WORD_1 src1_sel:DWORD
	v_fmac_f16_e32 v49, v33, v3
	v_mul_f16_sdwa v3, v34, v4 dst_sel:DWORD dst_unused:UNUSED_PAD src0_sel:WORD_1 src1_sel:DWORD
	s_waitcnt lgkmcnt(11)
	v_lshrrev_b32_e32 v44, 16, v10
	v_fma_f16 v16, v33, v16, -v2
	v_mul_f16_sdwa v2, v35, v5 dst_sel:DWORD dst_unused:UNUSED_PAD src0_sel:WORD_1 src1_sel:DWORD
	v_mul_f16_sdwa v33, v35, v22 dst_sel:DWORD dst_unused:UNUSED_PAD src0_sel:WORD_1 src1_sel:DWORD
	v_fmac_f16_e32 v32, v34, v4
	v_fma_f16 v21, v34, v21, -v3
	v_mul_f16_sdwa v34, v24, v23 dst_sel:DWORD dst_unused:UNUSED_PAD src0_sel:WORD_1 src1_sel:DWORD
	v_fma_f16 v22, v35, v22, -v2
	v_mul_f16_sdwa v2, v24, v6 dst_sel:DWORD dst_unused:UNUSED_PAD src0_sel:WORD_1 src1_sel:DWORD
	v_mul_f16_sdwa v48, v25, v40 dst_sel:DWORD dst_unused:UNUSED_PAD src0_sel:WORD_1 src1_sel:DWORD
	;; [unrolled: 1-line block ×3, first 2 shown]
	v_lshrrev_b32_e32 v43, 16, v8
	s_waitcnt lgkmcnt(10)
	v_lshrrev_b32_e32 v47, 16, v11
	v_fmac_f16_e32 v34, v24, v6
	v_fma_f16 v23, v24, v23, -v2
	v_fmac_f16_e32 v48, v25, v7
	v_fma_f16 v24, v25, v40, -v4
	v_mul_f16_sdwa v25, v27, v44 dst_sel:DWORD dst_unused:UNUSED_PAD src0_sel:WORD_1 src1_sel:DWORD
	v_mul_f16_sdwa v4, v27, v10 dst_sel:DWORD dst_unused:UNUSED_PAD src0_sel:WORD_1 src1_sel:DWORD
	s_waitcnt lgkmcnt(9)
	v_lshrrev_b32_e32 v3, 16, v12
	v_fmac_f16_e32 v33, v35, v5
	s_waitcnt lgkmcnt(3)
	v_lshrrev_b32_e32 v5, 16, v20
	v_lshrrev_b32_e32 v35, 16, v19
	v_mul_f16_sdwa v50, v26, v43 dst_sel:DWORD dst_unused:UNUSED_PAD src0_sel:WORD_1 src1_sel:DWORD
	v_mul_f16_sdwa v2, v26, v8 dst_sel:DWORD dst_unused:UNUSED_PAD src0_sel:WORD_1 src1_sel:DWORD
	v_fmac_f16_e32 v25, v27, v10
	v_fma_f16 v10, v27, v44, -v4
	v_mul_f16_sdwa v27, v99, v47 dst_sel:DWORD dst_unused:UNUSED_PAD src0_sel:WORD_1 src1_sel:DWORD
	v_mul_f16_sdwa v4, v99, v11 dst_sel:DWORD dst_unused:UNUSED_PAD src0_sel:WORD_1 src1_sel:DWORD
	v_fmac_f16_e32 v50, v26, v8
	v_lshrrev_b32_e32 v6, 16, v18
	v_fma_f16 v26, v26, v43, -v2
	v_lshrrev_b32_e32 v7, 16, v17
	v_fmac_f16_e32 v27, v99, v11
	v_mul_f16_sdwa v2, v28, v3 dst_sel:DWORD dst_unused:UNUSED_PAD src0_sel:WORD_1 src1_sel:DWORD
	v_fma_f16 v11, v99, v47, -v4
	v_mul_f16_sdwa v8, v28, v12 dst_sel:DWORD dst_unused:UNUSED_PAD src0_sel:WORD_1 src1_sel:DWORD
	v_mul_f16_sdwa v47, v29, v5 dst_sel:DWORD dst_unused:UNUSED_PAD src0_sel:WORD_1 src1_sel:DWORD
	;; [unrolled: 1-line block ×4, first 2 shown]
	s_waitcnt lgkmcnt(1)
	v_lshrrev_b32_e32 v40, 16, v42
	v_fmac_f16_e32 v2, v28, v12
	v_fma_f16 v3, v28, v3, -v8
	v_fmac_f16_e32 v47, v29, v20
	v_fma_f16 v12, v29, v5, -v51
	v_mul_f16_sdwa v5, v30, v19 dst_sel:DWORD dst_unused:UNUSED_PAD src0_sel:WORD_1 src1_sel:DWORD
	v_fmac_f16_e32 v4, v30, v19
	v_mul_f16_sdwa v19, v31, v6 dst_sel:DWORD dst_unused:UNUSED_PAD src0_sel:WORD_1 src1_sel:DWORD
	v_mul_f16_sdwa v20, v31, v18 dst_sel:DWORD dst_unused:UNUSED_PAD src0_sel:WORD_1 src1_sel:DWORD
	;; [unrolled: 1-line block ×3, first 2 shown]
	v_lshrrev_b32_e32 v43, 16, v41
	v_fma_f16 v5, v30, v35, -v5
	v_fmac_f16_e32 v19, v31, v18
	v_fma_f16 v18, v31, v6, -v20
	v_fmac_f16_e32 v8, v36, v17
	v_mul_f16_sdwa v6, v36, v17 dst_sel:DWORD dst_unused:UNUSED_PAD src0_sel:WORD_1 src1_sel:DWORD
	v_mul_f16_sdwa v17, v37, v40 dst_sel:DWORD dst_unused:UNUSED_PAD src0_sel:WORD_1 src1_sel:DWORD
	;; [unrolled: 1-line block ×4, first 2 shown]
	s_waitcnt lgkmcnt(0)
	v_lshrrev_b32_e32 v44, 16, v45
	v_lshrrev_b32_e32 v28, 16, v13
	v_mul_f16_sdwa v29, v38, v43 dst_sel:DWORD dst_unused:UNUSED_PAD src0_sel:WORD_1 src1_sel:DWORD
	v_fma_f16 v7, v36, v7, -v6
	v_fmac_f16_e32 v17, v37, v42
	v_fma_f16 v20, v37, v40, -v20
	v_fma_f16 v6, v38, v43, -v30
	v_add_f16_e32 v30, v33, v48
	v_add_f16_e32 v37, v9, v49
	v_fmac_f16_e32 v29, v38, v41
	v_mul_f16_sdwa v31, v39, v44 dst_sel:DWORD dst_unused:UNUSED_PAD src0_sel:WORD_1 src1_sel:DWORD
	v_mul_f16_sdwa v35, v39, v45 dst_sel:DWORD dst_unused:UNUSED_PAD src0_sel:WORD_1 src1_sel:DWORD
	;; [unrolled: 1-line block ×3, first 2 shown]
	v_fma_f16 v30, -0.5, v30, v9
	v_sub_f16_e32 v38, v16, v10
	v_add_f16_e32 v37, v37, v33
	v_add_f16_e32 v43, v49, v25
	v_fmac_f16_e32 v31, v39, v45
	v_fma_f16 v35, v39, v44, -v35
	v_fmac_f16_e32 v36, v102, v13
	v_fmamk_f16 v39, v38, 0xbb9c, v30
	v_sub_f16_e32 v40, v22, v24
	v_sub_f16_e32 v41, v49, v33
	;; [unrolled: 1-line block ×3, first 2 shown]
	v_mul_f16_sdwa v13, v102, v13 dst_sel:DWORD dst_unused:UNUSED_PAD src0_sel:WORD_1 src1_sel:DWORD
	v_add_f16_e32 v37, v37, v48
	v_fmac_f16_e32 v9, -0.5, v43
	v_fmac_f16_e32 v30, 0x3b9c, v38
	v_add_f16_e32 v44, v14, v16
	v_fmac_f16_e32 v39, 0xb8b4, v40
	v_add_f16_e32 v41, v41, v42
	v_fma_f16 v13, v102, v28, -v13
	v_add_f16_e32 v28, v37, v25
	v_fmamk_f16 v37, v40, 0x3b9c, v9
	v_fmac_f16_e32 v30, 0x38b4, v40
	v_fmac_f16_e32 v9, 0xbb9c, v40
	v_add_f16_e32 v40, v44, v22
	v_fmac_f16_e32 v39, 0x34f2, v41
	v_sub_f16_e32 v42, v33, v49
	v_sub_f16_e32 v43, v48, v25
	v_add_f16_e32 v45, v22, v24
	v_fmac_f16_e32 v37, 0xb8b4, v38
	v_fmac_f16_e32 v30, 0x34f2, v41
	;; [unrolled: 1-line block ×3, first 2 shown]
	v_add_f16_e32 v38, v40, v24
	v_add_f16_e32 v41, v16, v10
	;; [unrolled: 1-line block ×3, first 2 shown]
	v_fma_f16 v43, -0.5, v45, v14
	v_sub_f16_e32 v33, v33, v48
	v_sub_f16_e32 v44, v16, v22
	;; [unrolled: 1-line block ×3, first 2 shown]
	v_fmac_f16_e32 v14, -0.5, v41
	v_add_f16_e32 v38, v38, v10
	v_sub_f16_e32 v16, v22, v16
	v_sub_f16_e32 v10, v24, v10
	v_add_f16_e32 v22, v46, v32
	v_sub_f16_e32 v25, v49, v25
	v_fmac_f16_e32 v37, 0x34f2, v42
	v_fmac_f16_e32 v9, 0x34f2, v42
	v_fmamk_f16 v42, v33, 0xbb9c, v14
	v_add_f16_e32 v10, v16, v10
	v_fmac_f16_e32 v14, 0x3b9c, v33
	v_add_f16_e32 v16, v22, v34
	v_fmamk_f16 v40, v25, 0x3b9c, v43
	v_fmac_f16_e32 v43, 0xbb9c, v25
	v_fmac_f16_e32 v42, 0x38b4, v25
	v_add_f16_e32 v22, v34, v50
	v_fmac_f16_e32 v14, 0xb8b4, v25
	v_add_f16_e32 v16, v16, v50
	v_add_f16_e32 v24, v32, v27
	v_fmac_f16_e32 v40, 0x38b4, v33
	v_add_f16_e32 v41, v44, v45
	v_fmac_f16_e32 v43, 0xb8b4, v33
	v_fmac_f16_e32 v42, 0x34f2, v10
	v_fma_f16 v22, -0.5, v22, v46
	v_sub_f16_e32 v25, v21, v11
	v_fmac_f16_e32 v14, 0x34f2, v10
	v_add_f16_e32 v10, v16, v27
	v_sub_f16_e32 v16, v23, v26
	v_fmac_f16_e32 v46, -0.5, v24
	v_fmac_f16_e32 v40, 0x34f2, v41
	v_fmac_f16_e32 v43, 0x34f2, v41
	v_fmamk_f16 v24, v25, 0xbb9c, v22
	v_sub_f16_e32 v33, v32, v34
	v_sub_f16_e32 v41, v27, v50
	v_fmac_f16_e32 v22, 0x3b9c, v25
	v_fmamk_f16 v44, v16, 0x3b9c, v46
	v_fmac_f16_e32 v46, 0xbb9c, v16
	v_sub_f16_e32 v45, v34, v32
	v_sub_f16_e32 v48, v50, v27
	v_fmac_f16_e32 v24, 0xb8b4, v16
	v_add_f16_e32 v33, v33, v41
	v_fmac_f16_e32 v22, 0x38b4, v16
	v_fmac_f16_e32 v44, 0xb8b4, v25
	v_add_f16_e32 v16, v23, v26
	v_fmac_f16_e32 v46, 0x38b4, v25
	v_add_f16_e32 v25, v21, v11
	v_add_f16_e32 v41, v45, v48
	v_fmac_f16_e32 v24, 0x34f2, v33
	v_fmac_f16_e32 v22, 0x34f2, v33
	v_fma_f16 v16, -0.5, v16, v15
	v_sub_f16_e32 v27, v32, v27
	v_add_f16_e32 v32, v15, v21
	v_sub_f16_e32 v33, v34, v50
	v_fmac_f16_e32 v15, -0.5, v25
	v_fmac_f16_e32 v44, 0x34f2, v41
	v_fmac_f16_e32 v46, 0x34f2, v41
	v_fmamk_f16 v25, v27, 0x3b9c, v16
	v_sub_f16_e32 v34, v21, v23
	v_sub_f16_e32 v41, v11, v26
	v_fmamk_f16 v45, v33, 0xbb9c, v15
	v_sub_f16_e32 v21, v23, v21
	v_sub_f16_e32 v48, v26, v11
	v_fmac_f16_e32 v15, 0x3b9c, v33
	v_fmac_f16_e32 v16, 0xbb9c, v27
	v_add_f16_e32 v34, v34, v41
	v_fmac_f16_e32 v45, 0x38b4, v27
	v_add_f16_e32 v21, v21, v48
	;; [unrolled: 2-line block ×3, first 2 shown]
	v_fmac_f16_e32 v16, 0xb8b4, v33
	v_fmac_f16_e32 v25, 0x38b4, v33
	;; [unrolled: 1-line block ×4, first 2 shown]
	v_add_f16_e32 v21, v23, v26
	v_fmac_f16_e32 v16, 0x34f2, v34
	v_fmac_f16_e32 v25, 0x34f2, v34
	v_mul_f16_e32 v26, 0xbb9c, v45
	v_mul_f16_e32 v27, 0xbb9c, v15
	v_add_f16_e32 v11, v21, v11
	v_mul_f16_e32 v21, 0xb8b4, v16
	v_mul_f16_e32 v45, 0x34f2, v45
	;; [unrolled: 1-line block ×3, first 2 shown]
	v_fmac_f16_e32 v26, 0x34f2, v44
	v_fmac_f16_e32 v27, 0xb4f2, v46
	v_add_f16_e32 v32, v28, v10
	v_fmac_f16_e32 v21, 0xba79, v22
	v_mul_f16_e32 v25, 0x3a79, v25
	v_fmac_f16_e32 v45, 0x3b9c, v44
	v_sub_f16_e32 v10, v28, v10
	v_add_f16_e32 v28, v19, v17
	v_lshrrev_b32_e32 v1, 16, v0
	v_fmac_f16_e32 v23, 0x3a79, v24
	v_add_f16_e32 v34, v37, v26
	v_add_f16_e32 v41, v9, v27
	v_mul_f16_e32 v15, 0xb4f2, v15
	v_mul_f16_e32 v16, 0xba79, v16
	v_add_f16_e32 v48, v30, v21
	v_fmac_f16_e32 v25, 0x38b4, v24
	v_add_f16_e32 v44, v42, v45
	v_sub_f16_e32 v26, v37, v26
	v_sub_f16_e32 v9, v9, v27
	;; [unrolled: 1-line block ×3, first 2 shown]
	v_add_f16_e32 v27, v0, v47
	v_fma_f16 v28, -0.5, v28, v0
	v_sub_f16_e32 v30, v12, v35
	v_sub_f16_e32 v37, v42, v45
	v_add_f16_e32 v45, v47, v31
	v_add_f16_e32 v33, v39, v23
	v_fmac_f16_e32 v15, 0x3b9c, v46
	v_fmac_f16_e32 v16, 0x38b4, v22
	v_add_f16_e32 v22, v38, v11
	v_add_f16_e32 v24, v40, v25
	v_sub_f16_e32 v23, v39, v23
	v_sub_f16_e32 v11, v38, v11
	;; [unrolled: 1-line block ×3, first 2 shown]
	v_add_f16_e32 v27, v27, v19
	v_fmamk_f16 v38, v30, 0xbb9c, v28
	v_sub_f16_e32 v39, v18, v20
	v_sub_f16_e32 v40, v47, v19
	;; [unrolled: 1-line block ×3, first 2 shown]
	v_fmac_f16_e32 v0, -0.5, v45
	v_fmac_f16_e32 v28, 0x3b9c, v30
	v_add_f16_e32 v45, v1, v12
	v_add_f16_e32 v46, v14, v15
	;; [unrolled: 1-line block ×3, first 2 shown]
	v_sub_f16_e32 v14, v14, v15
	v_add_f16_e32 v15, v27, v17
	v_fmac_f16_e32 v38, 0xb8b4, v39
	v_add_f16_e32 v27, v40, v42
	v_sub_f16_e32 v16, v43, v16
	v_fmamk_f16 v40, v39, 0x3b9c, v0
	v_sub_f16_e32 v42, v19, v47
	v_sub_f16_e32 v43, v17, v31
	v_fmac_f16_e32 v28, 0x38b4, v39
	v_add_f16_e32 v50, v18, v20
	v_fmac_f16_e32 v0, 0xbb9c, v39
	v_add_f16_e32 v39, v45, v18
	v_add_f16_e32 v15, v15, v31
	v_fmac_f16_e32 v38, 0x34f2, v27
	v_add_f16_e32 v42, v42, v43
	v_fma_f16 v43, -0.5, v50, v1
	v_sub_f16_e32 v31, v47, v31
	v_fmac_f16_e32 v28, 0x34f2, v27
	v_add_f16_e32 v27, v39, v20
	v_add_f16_e32 v39, v12, v35
	v_fmac_f16_e32 v40, 0xb8b4, v30
	v_fmac_f16_e32 v0, 0x38b4, v30
	v_fmamk_f16 v30, v31, 0x3b9c, v43
	v_sub_f16_e32 v17, v19, v17
	v_sub_f16_e32 v19, v12, v18
	;; [unrolled: 1-line block ×3, first 2 shown]
	v_fmac_f16_e32 v1, -0.5, v39
	v_fmac_f16_e32 v43, 0xbb9c, v31
	v_sub_f16_e32 v12, v18, v12
	v_sub_f16_e32 v18, v20, v35
	v_add_f16_e32 v20, v2, v4
	v_fmac_f16_e32 v30, 0x38b4, v17
	v_add_f16_e32 v19, v19, v45
	v_fmamk_f16 v39, v17, 0xbb9c, v1
	v_fmac_f16_e32 v43, 0xb8b4, v17
	v_fmac_f16_e32 v1, 0x3b9c, v17
	v_add_f16_e32 v17, v20, v8
	v_fmac_f16_e32 v30, 0x34f2, v19
	v_fmac_f16_e32 v39, 0x38b4, v31
	v_add_f16_e32 v12, v12, v18
	v_add_f16_e32 v18, v8, v29
	v_fmac_f16_e32 v43, 0x34f2, v19
	v_fmac_f16_e32 v1, 0xb8b4, v31
	v_add_f16_e32 v17, v17, v29
	v_add_f16_e32 v19, v4, v36
	v_fmac_f16_e32 v39, 0x34f2, v12
	v_fma_f16 v18, -0.5, v18, v2
	v_sub_f16_e32 v20, v5, v13
	v_fmac_f16_e32 v1, 0x34f2, v12
	v_add_f16_e32 v12, v17, v36
	v_sub_f16_e32 v17, v7, v6
	v_fmac_f16_e32 v2, -0.5, v19
	v_fmac_f16_e32 v40, 0x34f2, v42
	v_fmac_f16_e32 v0, 0x34f2, v42
	v_add_f16_e32 v27, v27, v35
	v_fmamk_f16 v19, v20, 0xbb9c, v18
	v_sub_f16_e32 v31, v4, v8
	v_sub_f16_e32 v35, v36, v29
	v_fmac_f16_e32 v18, 0x3b9c, v20
	v_fmamk_f16 v42, v17, 0x3b9c, v2
	v_fmac_f16_e32 v2, 0xbb9c, v17
	v_sub_f16_e32 v45, v8, v4
	v_sub_f16_e32 v47, v29, v36
	v_fmac_f16_e32 v19, 0xb8b4, v17
	v_add_f16_e32 v31, v31, v35
	v_fmac_f16_e32 v18, 0x38b4, v17
	v_fmac_f16_e32 v42, 0xb8b4, v20
	v_add_f16_e32 v17, v7, v6
	v_fmac_f16_e32 v2, 0x38b4, v20
	v_add_f16_e32 v20, v5, v13
	v_add_f16_e32 v35, v45, v47
	v_fmac_f16_e32 v19, 0x34f2, v31
	v_fmac_f16_e32 v18, 0x34f2, v31
	v_fma_f16 v17, -0.5, v17, v3
	v_sub_f16_e32 v4, v4, v36
	v_add_f16_e32 v31, v3, v5
	v_sub_f16_e32 v8, v8, v29
	v_fmac_f16_e32 v3, -0.5, v20
	v_fmac_f16_e32 v42, 0x34f2, v35
	v_fmac_f16_e32 v2, 0x34f2, v35
	v_fmamk_f16 v20, v4, 0x3b9c, v17
	v_sub_f16_e32 v29, v5, v7
	v_sub_f16_e32 v35, v13, v6
	v_fmamk_f16 v36, v8, 0xbb9c, v3
	v_sub_f16_e32 v5, v7, v5
	v_sub_f16_e32 v45, v6, v13
	v_fmac_f16_e32 v3, 0x3b9c, v8
	v_fmac_f16_e32 v17, 0xbb9c, v4
	v_add_f16_e32 v29, v29, v35
	v_fmac_f16_e32 v20, 0x38b4, v8
	v_add_f16_e32 v5, v5, v45
	v_fmac_f16_e32 v3, 0xb8b4, v4
	v_fmac_f16_e32 v17, 0xb8b4, v8
	;; [unrolled: 1-line block ×4, first 2 shown]
	v_add_f16_e32 v4, v31, v7
	v_fmac_f16_e32 v3, 0x34f2, v5
	v_fmac_f16_e32 v17, 0x34f2, v29
	v_fmac_f16_e32 v36, 0x34f2, v5
	v_mul_f16_e32 v5, 0xb8b4, v20
	v_mul_f16_e32 v20, 0x3a79, v20
	;; [unrolled: 1-line block ×6, first 2 shown]
	v_add_f16_e32 v4, v4, v6
	v_mul_f16_e32 v6, 0xbb9c, v36
	v_mul_f16_e32 v36, 0x34f2, v36
	v_fmac_f16_e32 v3, 0x3b9c, v2
	v_fmac_f16_e32 v17, 0x38b4, v18
	;; [unrolled: 1-line block ×5, first 2 shown]
	v_add_f16_e32 v4, v4, v13
	v_fmac_f16_e32 v5, 0x3a79, v19
	v_fmac_f16_e32 v6, 0x34f2, v42
	;; [unrolled: 1-line block ×3, first 2 shown]
	v_add_f16_e32 v42, v1, v3
	v_add_f16_e32 v47, v43, v17
	v_sub_f16_e32 v1, v1, v3
	v_sub_f16_e32 v3, v43, v17
	v_pack_b32_f16 v17, v32, v22
	v_add_f16_e32 v35, v0, v7
	v_add_f16_e32 v45, v28, v8
	;; [unrolled: 1-line block ×3, first 2 shown]
	v_sub_f16_e32 v0, v0, v7
	v_sub_f16_e32 v7, v28, v8
	;; [unrolled: 1-line block ×3, first 2 shown]
	v_pack_b32_f16 v20, v33, v24
	v_add_f16_e32 v13, v15, v12
	v_add_f16_e32 v2, v27, v4
	v_pack_b32_f16 v22, v34, v44
	v_add_f16_e32 v29, v38, v5
	v_pack_b32_f16 v24, v41, v46
	v_pack_b32_f16 v10, v10, v11
	v_add_f16_e32 v31, v40, v6
	v_add_f16_e32 v19, v39, v36
	v_sub_f16_e32 v4, v27, v4
	v_pack_b32_f16 v27, v48, v49
	v_pack_b32_f16 v11, v23, v25
	ds_write_b32 v67, v17
	ds_write_b32 v67, v20 offset:4000
	ds_write_b32 v67, v22 offset:8000
	;; [unrolled: 1-line block ×4, first 2 shown]
	v_pack_b32_f16 v17, v26, v37
	v_pack_b32_f16 v9, v9, v14
	v_sub_f16_e32 v12, v15, v12
	v_pack_b32_f16 v14, v21, v16
	v_pack_b32_f16 v2, v13, v2
	v_sub_f16_e32 v5, v38, v5
	ds_write_b32 v67, v10 offset:20000
	ds_write_b32 v67, v11 offset:24000
	;; [unrolled: 1-line block ×5, first 2 shown]
	v_pack_b32_f16 v9, v29, v18
	v_sub_f16_e32 v6, v40, v6
	v_sub_f16_e32 v15, v39, v36
	v_pack_b32_f16 v10, v31, v19
	v_pack_b32_f16 v11, v35, v42
	v_pack_b32_f16 v13, v45, v47
	ds_write_b32 v67, v2 offset:2000
	ds_write_b32 v67, v9 offset:6000
	;; [unrolled: 1-line block ×5, first 2 shown]
	v_pack_b32_f16 v2, v12, v4
	v_pack_b32_f16 v4, v5, v8
	;; [unrolled: 1-line block ×5, first 2 shown]
	ds_write_b32 v67, v2 offset:22000
	ds_write_b32 v67, v4 offset:26000
	;; [unrolled: 1-line block ×5, first 2 shown]
	s_waitcnt lgkmcnt(0)
	s_barrier
	buffer_gl0_inv
	ds_read_b32 v0, v67
	ds_read_b32 v15, v67 offset:2000
	ds_read_b32 v10, v67 offset:4000
	;; [unrolled: 1-line block ×5, first 2 shown]
	s_waitcnt lgkmcnt(5)
	v_lshrrev_b32_e32 v6, 16, v0
	v_mul_f16_sdwa v3, v73, v6 dst_sel:DWORD dst_unused:UNUSED_PAD src0_sel:WORD_1 src1_sel:DWORD
	v_fmac_f16_e32 v3, v73, v0
	v_mul_f16_sdwa v0, v73, v0 dst_sel:DWORD dst_unused:UNUSED_PAD src0_sel:WORD_1 src1_sel:DWORD
	v_cvt_f32_f16_e32 v3, v3
	v_fma_f16 v0, v73, v6, -v0
	v_cvt_f64_f32_e32 v[3:4], v3
	v_cvt_f32_f16_e32 v0, v0
	v_mul_f64 v[6:7], v[3:4], s[2:3]
	v_cvt_f64_f32_e32 v[3:4], v0
	v_and_or_b32 v0, 0x1ff, v7, v6
	v_mul_f64 v[16:17], v[3:4], s[2:3]
	ds_read_b32 v3, v67 offset:10000
	v_lshrrev_b32_e32 v4, 8, v7
	v_bfe_u32 v6, v7, 20, 11
	v_cmp_ne_u32_e32 vcc_lo, 0, v0
	v_lshrrev_b32_e32 v7, 16, v7
	v_sub_nc_u32_e32 v12, 0x3f1, v6
	v_cndmask_b32_e64 v0, 0, 1, vcc_lo
	v_add_nc_u32_e32 v6, 0xfffffc10, v6
	v_med3_i32 v12, v12, 0, 13
	v_and_or_b32 v11, 0xffe, v4, v0
	ds_read_b32 v8, v67 offset:24000
	ds_read_b32 v13, v67 offset:12000
	;; [unrolled: 1-line block ×6, first 2 shown]
	v_or_b32_e32 v14, 0x1000, v11
	v_lshl_or_b32 v24, v6, 12, v11
	s_waitcnt lgkmcnt(6)
	v_lshrrev_b32_e32 v22, 16, v3
	v_and_or_b32 v16, 0x1ff, v17, v16
	v_lshrrev_b32_e32 v19, 8, v17
	v_lshrrev_b32_e32 v20, v12, v14
	v_bfe_u32 v23, v17, 20, 11
	v_mul_f16_sdwa v18, v74, v22 dst_sel:DWORD dst_unused:UNUSED_PAD src0_sel:WORD_1 src1_sel:DWORD
	v_cmp_ne_u32_e32 vcc_lo, 0, v16
	v_lshlrev_b32_e32 v12, v12, v20
	v_sub_nc_u32_e32 v21, 0x3f1, v23
	v_fmac_f16_e32 v18, v74, v3
	v_cndmask_b32_e64 v16, 0, 1, vcc_lo
	v_mul_f16_sdwa v3, v74, v3 dst_sel:DWORD dst_unused:UNUSED_PAD src0_sel:WORD_1 src1_sel:DWORD
	v_cmp_ne_u32_e32 vcc_lo, v12, v14
	v_med3_i32 v21, v21, 0, 13
	v_cvt_f32_f16_e32 v18, v18
	v_and_or_b32 v16, 0xffe, v19, v16
	v_fma_f16 v3, v74, v22, -v3
	v_cndmask_b32_e64 v12, 0, 1, vcc_lo
	v_cmp_gt_i32_e32 vcc_lo, 1, v6
	v_cvt_f64_f32_e32 v[18:19], v18
	v_or_b32_e32 v14, 0x1000, v16
	v_add_nc_u32_e32 v29, 0xfffffc10, v23
	v_or_b32_e32 v20, v20, v12
	v_cvt_f32_f16_e32 v3, v3
	ds_read_b32 v12, v67 offset:22000
	v_lshrrev_b32_e32 v25, v21, v14
	v_cmp_gt_i32_e64 s1, 1, v29
	v_cndmask_b32_e32 v24, v24, v20, vcc_lo
	v_cvt_f64_f32_e32 v[22:23], v3
	v_lshlrev_b32_e32 v26, v21, v25
	v_mad_u64_u32 v[20:21], null, s10, v52, 0
	v_and_b32_e32 v28, 7, v24
	v_lshrrev_b32_e32 v24, 2, v24
	v_cmp_ne_u32_e32 vcc_lo, v26, v14
	v_cmp_eq_u32_e64 s0, 3, v28
	v_mov_b32_e32 v3, v21
	v_cndmask_b32_e64 v14, 0, 1, vcc_lo
	v_mul_f64 v[18:19], v[18:19], s[2:3]
	v_cmp_lt_i32_e32 vcc_lo, 5, v28
	v_or_b32_e32 v14, v25, v14
	v_lshl_or_b32 v25, v29, 12, v16
	s_or_b32 vcc_lo, s0, vcc_lo
	v_add_co_ci_u32_e32 v21, vcc_lo, 0, v24, vcc_lo
	v_cndmask_b32_e64 v14, v25, v14, s1
	v_cmp_ne_u32_e32 vcc_lo, 0, v11
	s_waitcnt lgkmcnt(3)
	v_mad_u64_u32 v[24:25], null, s11, v52, v[3:4]
	v_cmp_gt_i32_e64 s1, 31, v6
	v_and_b32_e32 v26, 7, v14
	v_cndmask_b32_e64 v3, 0, 1, vcc_lo
	v_lshrrev_b32_e32 v14, 2, v14
	v_cndmask_b32_e64 v11, 0x7c00, v21, s1
	v_cmp_lt_i32_e32 vcc_lo, 5, v26
	v_cmp_eq_u32_e64 s0, 3, v26
	v_and_or_b32 v18, 0x1ff, v19, v18
	v_mul_f64 v[21:22], v[22:23], s[2:3]
	v_lshl_or_b32 v3, v3, 9, 0x7c00
	v_lshrrev_b32_e32 v23, 8, v19
	s_or_b32 vcc_lo, s0, vcc_lo
	v_bfe_u32 v28, v19, 20, 11
	v_add_co_ci_u32_e32 v14, vcc_lo, 0, v14, vcc_lo
	v_cmp_ne_u32_e32 vcc_lo, 0, v18
	v_mad_u64_u32 v[25:26], null, s8, v71, 0
	v_cndmask_b32_e64 v18, 0, 1, vcc_lo
	v_cmp_ne_u32_e32 vcc_lo, 0, v16
	v_and_or_b32 v18, 0xffe, v23, v18
	v_cndmask_b32_e64 v16, 0, 1, vcc_lo
	v_cmp_gt_i32_e32 vcc_lo, 31, v29
	v_sub_nc_u32_e32 v23, 0x3f1, v28
	v_add_nc_u32_e32 v28, 0xfffffc10, v28
	v_or_b32_e32 v30, 0x1000, v18
	v_lshl_or_b32 v16, v16, 9, 0x7c00
	v_cndmask_b32_e32 v14, 0x7c00, v14, vcc_lo
	v_cmp_eq_u32_e32 vcc_lo, 0x40f, v6
	v_med3_i32 v23, v23, 0, 13
	v_cmp_eq_u32_e64 s1, 0x40f, v28
	v_cndmask_b32_e32 v6, v11, v3, vcc_lo
	v_cmp_eq_u32_e32 vcc_lo, 0x40f, v29
	v_mov_b32_e32 v3, v26
	v_lshrrev_b32_e32 v31, v23, v30
	v_lshrrev_b32_e32 v29, 16, v17
	v_and_or_b32 v26, 0x8000, v7, v6
	v_cndmask_b32_e32 v11, v14, v16, vcc_lo
	v_and_or_b32 v16, 0x1ff, v22, v21
	s_waitcnt lgkmcnt(1)
	v_lshrrev_b32_e32 v14, 16, v27
	v_mad_u64_u32 v[6:7], null, s9, v71, v[3:4]
	v_lshlrev_b32_e32 v21, v23, v31
	v_cmp_ne_u32_e32 vcc_lo, 0, v16
	v_lshrrev_b32_e32 v7, 8, v22
	v_bfe_u32 v23, v22, 20, 11
	v_mul_f16_sdwa v17, v72, v14 dst_sel:DWORD dst_unused:UNUSED_PAD src0_sel:WORD_1 src1_sel:DWORD
	v_and_or_b32 v11, 0x8000, v29, v11
	v_cndmask_b32_e64 v3, 0, 1, vcc_lo
	v_cmp_ne_u32_e32 vcc_lo, v21, v30
	v_lshrrev_b32_e32 v22, 16, v22
	v_fmac_f16_e32 v17, v72, v27
	v_mul_f16_sdwa v27, v72, v27 dst_sel:DWORD dst_unused:UNUSED_PAD src0_sel:WORD_1 src1_sel:DWORD
	v_and_or_b32 v3, 0xffe, v7, v3
	v_sub_nc_u32_e32 v7, 0x3f1, v23
	v_cndmask_b32_e64 v21, 0, 1, vcc_lo
	v_cvt_f32_f16_e32 v16, v17
	v_cmp_gt_i32_e32 vcc_lo, 1, v28
	v_or_b32_e32 v32, 0x1000, v3
	v_med3_i32 v7, v7, 0, 13
	v_or_b32_e32 v30, v31, v21
	v_lshl_or_b32 v31, v28, 12, v18
	v_cvt_f64_f32_e32 v[16:17], v16
	v_mov_b32_e32 v21, v24
	v_lshrrev_b32_e32 v29, v7, v32
	v_cndmask_b32_e32 v24, v31, v30, vcc_lo
	v_and_b32_e32 v30, 0xffff, v26
	v_mov_b32_e32 v26, v6
	v_lshlrev_b32_e32 v7, v7, v29
	v_fma_f16 v6, v72, v14, -v27
	v_and_b32_e32 v31, 7, v24
	v_lshrrev_b32_e32 v14, 2, v24
	v_lshl_or_b32 v30, v11, 16, v30
	v_cmp_ne_u32_e64 s0, v7, v32
	v_cvt_f32_f16_e32 v6, v6
	v_cmp_lt_i32_e32 vcc_lo, 5, v31
	v_add_nc_u32_e32 v11, 0xfffffc10, v23
	v_lshlrev_b64 v[20:21], 2, v[20:21]
	v_cndmask_b32_e64 v7, 0, 1, s0
	v_cmp_eq_u32_e64 s0, 3, v31
	v_lshl_or_b32 v24, v11, 12, v3
	v_mul_f64 v[16:17], v[16:17], s[2:3]
	s_or_b32 vcc_lo, s0, vcc_lo
	v_or_b32_e32 v23, v29, v7
	v_add_co_ci_u32_e32 v14, vcc_lo, 0, v14, vcc_lo
	v_cmp_ne_u32_e32 vcc_lo, 0, v18
	v_cvt_f64_f32_e32 v[6:7], v6
	v_cndmask_b32_e64 v18, 0, 1, vcc_lo
	v_cmp_gt_i32_e32 vcc_lo, 1, v11
	v_lshl_or_b32 v18, v18, 9, 0x7c00
	v_cndmask_b32_e32 v23, v24, v23, vcc_lo
	v_add_co_u32 v27, vcc_lo, s4, v20
	v_add_co_ci_u32_e32 v29, vcc_lo, s5, v21, vcc_lo
	v_and_b32_e32 v24, 7, v23
	v_cmp_gt_i32_e32 vcc_lo, 31, v28
	v_lshlrev_b64 v[20:21], 2, v[25:26]
	ds_read_b32 v26, v67 offset:30000
	v_lshrrev_b32_e32 v25, 2, v23
	v_cmp_eq_u32_e64 s0, 3, v24
	v_cndmask_b32_e32 v14, 0x7c00, v14, vcc_lo
	v_cmp_lt_i32_e32 vcc_lo, 5, v24
	v_and_or_b32 v16, 0x1ff, v17, v16
	v_mul_f64 v[23:24], v[6:7], s[2:3]
	v_lshrrev_b32_e32 v28, 16, v19
	v_cndmask_b32_e64 v14, v14, v18, s1
	s_or_b32 vcc_lo, s0, vcc_lo
	s_mul_i32 s1, s9, 0x2710
	v_add_co_ci_u32_e32 v6, vcc_lo, 0, v25, vcc_lo
	v_cmp_ne_u32_e32 vcc_lo, 0, v16
	v_lshrrev_b32_e32 v16, 8, v17
	v_bfe_u32 v25, v17, 20, 11
	s_mul_hi_u32 s4, s8, 0x2710
	v_lshrrev_b32_e32 v17, 16, v17
	v_cndmask_b32_e64 v7, 0, 1, vcc_lo
	v_cmp_ne_u32_e32 vcc_lo, 0, v3
	s_add_i32 s4, s4, s1
	s_mul_i32 s5, s8, 0x2710
	v_and_or_b32 v16, 0xffe, v16, v7
	v_sub_nc_u32_e32 v7, 0x3f1, v25
	v_cndmask_b32_e64 v3, 0, 1, vcc_lo
	v_cmp_gt_i32_e32 vcc_lo, 31, v11
	v_add_nc_u32_e32 v25, 0xfffffc10, v25
	v_or_b32_e32 v33, 0x1000, v16
	v_med3_i32 v7, v7, 0, 13
	v_lshl_or_b32 v32, v3, 9, 0x7c00
	v_cndmask_b32_e32 v31, 0x7c00, v6, vcc_lo
	v_add_co_u32 v18, vcc_lo, v27, v20
	v_add_co_ci_u32_e32 v19, vcc_lo, v29, v21, vcc_lo
	v_and_or_b32 v20, 0x1ff, v24, v23
	s_waitcnt lgkmcnt(0)
	v_lshrrev_b32_e32 v23, 16, v26
	v_lshrrev_b32_e32 v21, v7, v33
	v_cmp_eq_u32_e32 vcc_lo, 0x40f, v11
	v_and_or_b32 v27, 0x8000, v28, v14
	v_lshl_or_b32 v34, v25, 12, v16
	v_mul_f16_sdwa v29, v70, v23 dst_sel:DWORD dst_unused:UNUSED_PAD src0_sel:WORD_1 src1_sel:DWORD
	v_lshlrev_b32_e32 v7, v7, v21
	v_cndmask_b32_e32 v28, v31, v32, vcc_lo
	v_cmp_ne_u32_e32 vcc_lo, 0, v20
	v_lshrrev_b32_e32 v31, 8, v24
	v_fmac_f16_e32 v29, v70, v26
	v_bfe_u32 v32, v24, 20, 11
	v_mul_f16_sdwa v26, v70, v26 dst_sel:DWORD dst_unused:UNUSED_PAD src0_sel:WORD_1 src1_sel:DWORD
	v_cndmask_b32_e64 v20, 0, 1, vcc_lo
	v_cmp_ne_u32_e32 vcc_lo, v7, v33
	v_cvt_f32_f16_e32 v29, v29
	v_sub_nc_u32_e32 v33, 0x3f1, v32
	v_fma_f16 v23, v70, v23, -v26
	v_and_or_b32 v31, 0xffe, v31, v20
	v_cndmask_b32_e64 v7, 0, 1, vcc_lo
	v_cmp_gt_i32_e32 vcc_lo, 1, v25
	v_med3_i32 v33, v33, 0, 13
	v_and_or_b32 v22, 0x8000, v22, v28
	v_and_b32_e32 v27, 0xffff, v27
	v_or_b32_e32 v7, v21, v7
	v_cvt_f64_f32_e32 v[20:21], v29
	v_or_b32_e32 v29, 0x1000, v31
	v_cvt_f32_f16_e32 v23, v23
	v_lshl_or_b32 v35, v22, 16, v27
	v_cndmask_b32_e32 v28, v34, v7, vcc_lo
	v_cmp_eq_u32_e64 s1, 0x40f, v25
	v_lshrrev_b32_e32 v26, v33, v29
	v_cvt_f64_f32_e32 v[22:23], v23
	ds_read_b32 v14, v67 offset:32000
	ds_read_b32 v6, v67 offset:26000
	;; [unrolled: 1-line block ×3, first 2 shown]
	v_and_b32_e32 v34, 7, v28
	v_lshrrev_b32_e32 v28, 2, v28
	v_lshlrev_b32_e32 v33, v33, v26
	global_store_dword v[18:19], v30, off
	ds_read_b32 v11, v67 offset:34000
	ds_read_b32 v7, v67 offset:36000
	v_cmp_lt_i32_e32 vcc_lo, 5, v34
	v_cmp_ne_u32_e64 s0, v33, v29
	v_add_nc_u32_e32 v29, 0xfffffc10, v32
	v_lshrrev_b32_e32 v32, 16, v15
	v_cndmask_b32_e64 v27, 0, 1, s0
	v_cmp_eq_u32_e64 s0, 3, v34
	v_mul_f64 v[20:21], v[20:21], s[2:3]
	v_or_b32_e32 v26, v26, v27
	s_or_b32 vcc_lo, s0, vcc_lo
	v_lshl_or_b32 v27, v29, 12, v31
	v_add_co_ci_u32_e32 v28, vcc_lo, 0, v28, vcc_lo
	v_cmp_gt_i32_e32 vcc_lo, 1, v29
	v_mul_f64 v[22:23], v[22:23], s[2:3]
	v_cndmask_b32_e32 v26, v27, v26, vcc_lo
	v_cmp_ne_u32_e32 vcc_lo, 0, v16
	v_and_b32_e32 v27, 7, v26
	v_cndmask_b32_e64 v16, 0, 1, vcc_lo
	v_cmp_gt_i32_e32 vcc_lo, 31, v25
	v_lshrrev_b32_e32 v25, 2, v26
	v_and_or_b32 v20, 0x1ff, v21, v20
	v_cmp_eq_u32_e64 s0, 3, v27
	v_lshl_or_b32 v16, v16, 9, 0x7c00
	v_cndmask_b32_e32 v28, 0x7c00, v28, vcc_lo
	v_cmp_lt_i32_e32 vcc_lo, 5, v27
	v_mul_f16_sdwa v26, v68, v32 dst_sel:DWORD dst_unused:UNUSED_PAD src0_sel:WORD_1 src1_sel:DWORD
	v_lshrrev_b32_e32 v27, 8, v21
	v_cndmask_b32_e64 v16, v28, v16, s1
	v_cmp_ne_u32_e64 s1, 0, v20
	s_or_b32 vcc_lo, s0, vcc_lo
	v_bfe_u32 v28, v21, 20, 11
	v_add_co_ci_u32_e32 v25, vcc_lo, 0, v25, vcc_lo
	v_cndmask_b32_e64 v20, 0, 1, s1
	v_fmac_f16_e32 v26, v68, v15
	v_cmp_ne_u32_e32 vcc_lo, 0, v31
	v_and_or_b32 v22, 0x1ff, v23, v22
	v_mul_f16_sdwa v15, v68, v15 dst_sel:DWORD dst_unused:UNUSED_PAD src0_sel:WORD_1 src1_sel:DWORD
	v_and_or_b32 v20, 0xffe, v27, v20
	v_sub_nc_u32_e32 v27, 0x3f1, v28
	v_cndmask_b32_e64 v31, 0, 1, vcc_lo
	v_cvt_f32_f16_e32 v26, v26
	v_cmp_gt_i32_e32 vcc_lo, 31, v29
	v_or_b32_e32 v33, 0x1000, v20
	v_med3_i32 v27, v27, 0, 13
	v_lshl_or_b32 v31, v31, 9, 0x7c00
	v_lshrrev_b32_e32 v37, 8, v23
	v_cndmask_b32_e32 v34, 0x7c00, v25, vcc_lo
	v_cvt_f64_f32_e32 v[25:26], v26
	v_lshrrev_b32_e32 v36, v27, v33
	v_cmp_ne_u32_e32 vcc_lo, 0, v22
	v_bfe_u32 v38, v23, 20, 11
	v_fma_f16 v15, v68, v32, -v15
	v_add_nc_u32_e32 v28, 0xfffffc10, v28
	v_lshlrev_b32_e32 v27, v27, v36
	v_cndmask_b32_e64 v22, 0, 1, vcc_lo
	v_cmp_eq_u32_e32 vcc_lo, 0x40f, v29
	v_and_or_b32 v17, 0x8000, v17, v16
	v_add_nc_u32_e32 v30, 0xfffffc10, v38
	v_and_or_b32 v22, 0xffe, v37, v22
	v_cndmask_b32_e32 v29, v34, v31, vcc_lo
	v_cmp_ne_u32_e32 vcc_lo, v27, v33
	v_sub_nc_u32_e32 v31, 0x3f1, v38
	v_lshrrev_b32_e32 v34, 16, v24
	v_cvt_f32_f16_e32 v27, v15
	v_or_b32_e32 v37, 0x1000, v22
	v_cndmask_b32_e64 v24, 0, 1, vcc_lo
	v_med3_i32 v31, v31, 0, 13
	v_and_or_b32 v29, 0x8000, v34, v29
	v_mul_f64 v[15:16], v[25:26], s[2:3]
	v_add_co_u32 v26, vcc_lo, v18, s5
	v_or_b32_e32 v33, v36, v24
	v_cvt_f64_f32_e32 v[24:25], v27
	v_add_co_ci_u32_e32 v27, vcc_lo, s4, v19, vcc_lo
	v_lshrrev_b32_e32 v32, v31, v37
	v_lshl_or_b32 v36, v28, 12, v20
	v_cmp_gt_i32_e32 vcc_lo, 1, v28
	v_and_b32_e32 v17, 0xffff, v17
	global_store_dword v[26:27], v35, off
	v_lshlrev_b32_e32 v31, v31, v32
	v_cndmask_b32_e32 v33, v36, v33, vcc_lo
	v_lshl_or_b32 v29, v29, 16, v17
	v_cmp_ne_u32_e32 vcc_lo, v31, v37
	v_and_b32_e32 v18, 7, v33
	v_lshrrev_b32_e32 v19, 2, v33
	v_cndmask_b32_e64 v17, 0, 1, vcc_lo
	v_and_or_b32 v15, 0x1ff, v16, v15
	v_cmp_lt_i32_e32 vcc_lo, 5, v18
	v_cmp_eq_u32_e64 s0, 3, v18
	v_or_b32_e32 v31, v32, v17
	v_mul_f64 v[17:18], v[24:25], s[2:3]
	v_lshl_or_b32 v32, v30, 12, v22
	s_or_b32 vcc_lo, s0, vcc_lo
	v_lshrrev_b32_e32 v24, 8, v16
	v_add_co_ci_u32_e32 v19, vcc_lo, 0, v19, vcc_lo
	v_cmp_ne_u32_e32 vcc_lo, 0, v15
	v_bfe_u32 v25, v16, 20, 11
	v_cndmask_b32_e64 v15, 0, 1, vcc_lo
	v_cmp_gt_i32_e32 vcc_lo, 1, v30
	v_and_or_b32 v15, 0xffe, v24, v15
	v_cndmask_b32_e32 v31, v32, v31, vcc_lo
	v_cmp_ne_u32_e32 vcc_lo, 0, v20
	v_sub_nc_u32_e32 v24, 0x3f1, v25
	v_add_nc_u32_e32 v25, 0xfffffc10, v25
	v_and_b32_e32 v32, 7, v31
	v_cndmask_b32_e64 v20, 0, 1, vcc_lo
	v_cmp_gt_i32_e32 vcc_lo, 31, v28
	v_med3_i32 v24, v24, 0, 13
	v_and_or_b32 v17, 0x1ff, v18, v17
	v_cmp_eq_u32_e64 s0, 3, v32
	v_lshl_or_b32 v34, v20, 9, 0x7c00
	v_cndmask_b32_e32 v33, 0x7c00, v19, vcc_lo
	v_cmp_lt_i32_e32 vcc_lo, 5, v32
	v_lshrrev_b32_e32 v20, 2, v31
	v_or_b32_e32 v19, 0x1000, v15
	v_lshrrev_b32_e32 v32, 16, v13
	v_lshrrev_b32_e32 v36, 8, v18
	s_or_b32 vcc_lo, s0, vcc_lo
	v_bfe_u32 v37, v18, 20, 11
	v_add_co_ci_u32_e32 v20, vcc_lo, 0, v20, vcc_lo
	v_lshrrev_b32_e32 v31, v24, v19
	v_cmp_ne_u32_e32 vcc_lo, 0, v17
	v_mul_f16_sdwa v35, v69, v32 dst_sel:DWORD dst_unused:UNUSED_PAD src0_sel:WORD_1 src1_sel:DWORD
	v_lshl_or_b32 v38, v25, 12, v15
	v_cmp_eq_u32_e64 s1, 0x40f, v25
	v_lshlrev_b32_e32 v24, v24, v31
	v_cndmask_b32_e64 v17, 0, 1, vcc_lo
	v_cmp_ne_u32_e32 vcc_lo, 0, v22
	v_fmac_f16_e32 v35, v69, v13
	v_mul_f16_sdwa v13, v69, v13 dst_sel:DWORD dst_unused:UNUSED_PAD src0_sel:WORD_1 src1_sel:DWORD
	v_and_or_b32 v17, 0xffe, v36, v17
	v_cndmask_b32_e64 v22, 0, 1, vcc_lo
	v_cmp_ne_u32_e32 vcc_lo, v24, v19
	v_sub_nc_u32_e32 v36, 0x3f1, v37
	v_cvt_f32_f16_e32 v24, v35
	v_or_b32_e32 v35, 0x1000, v17
	v_lshl_or_b32 v22, v22, 9, 0x7c00
	v_cndmask_b32_e64 v19, 0, 1, vcc_lo
	v_cmp_gt_i32_e32 vcc_lo, 31, v30
	v_med3_i32 v36, v36, 0, 13
	v_fma_f16 v13, v69, v32, -v13
	v_or_b32_e32 v31, v31, v19
	v_cndmask_b32_e32 v39, 0x7c00, v20, vcc_lo
	v_cmp_gt_i32_e32 vcc_lo, 1, v25
	v_cvt_f64_f32_e32 v[19:20], v24
	v_lshrrev_b32_e32 v24, v36, v35
	v_cvt_f32_f16_e32 v13, v13
	v_cndmask_b32_e32 v31, v38, v31, vcc_lo
	v_cmp_eq_u32_e32 vcc_lo, 0x40f, v28
	v_lshrrev_b32_e32 v38, 16, v23
	v_cndmask_b32_e32 v28, v33, v34, vcc_lo
	v_lshlrev_b32_e32 v33, v36, v24
	v_and_b32_e32 v34, 7, v31
	v_cmp_eq_u32_e32 vcc_lo, 0x40f, v30
	v_lshrrev_b32_e32 v36, 16, v21
	v_cmp_ne_u32_e64 s0, v33, v35
	v_add_nc_u32_e32 v33, 0xfffffc10, v37
	v_cndmask_b32_e32 v30, v39, v22, vcc_lo
	v_cmp_lt_i32_e32 vcc_lo, 5, v34
	v_lshrrev_b32_e32 v22, 2, v31
	v_cndmask_b32_e64 v21, 0, 1, s0
	v_cmp_eq_u32_e64 s0, 3, v34
	v_mul_f64 v[19:20], v[19:20], s[2:3]
	v_and_or_b32 v30, 0x8000, v38, v30
	v_or_b32_e32 v23, v24, v21
	s_or_b32 vcc_lo, s0, vcc_lo
	v_lshl_or_b32 v24, v33, 12, v17
	v_add_co_ci_u32_e32 v31, vcc_lo, 0, v22, vcc_lo
	v_cmp_ne_u32_e32 vcc_lo, 0, v15
	v_cvt_f64_f32_e32 v[21:22], v13
	v_cndmask_b32_e64 v15, 0, 1, vcc_lo
	v_cmp_gt_i32_e32 vcc_lo, 1, v33
	v_lshl_or_b32 v15, v15, 9, 0x7c00
	v_cndmask_b32_e32 v13, v24, v23, vcc_lo
	v_add_co_u32 v23, vcc_lo, v26, s5
	v_add_co_ci_u32_e32 v24, vcc_lo, s4, v27, vcc_lo
	v_and_b32_e32 v27, 7, v13
	v_cmp_gt_i32_e32 vcc_lo, 31, v25
	v_and_or_b32 v26, 0x8000, v36, v28
	v_lshrrev_b32_e32 v13, 2, v13
	v_and_or_b32 v19, 0x1ff, v20, v19
	v_cmp_eq_u32_e64 s0, 3, v27
	v_cndmask_b32_e32 v28, 0x7c00, v31, vcc_lo
	v_cmp_lt_i32_e32 vcc_lo, 5, v27
	v_lshrrev_b32_e32 v27, 16, v16
	v_lshrrev_b32_e32 v31, 16, v12
	v_and_b32_e32 v26, 0xffff, v26
	v_cndmask_b32_e64 v25, v28, v15, s1
	s_or_b32 vcc_lo, s0, vcc_lo
	v_mul_f64 v[15:16], v[21:22], s[2:3]
	v_add_co_ci_u32_e32 v13, vcc_lo, 0, v13, vcc_lo
	v_cmp_ne_u32_e32 vcc_lo, 0, v17
	v_lshrrev_b32_e32 v21, 8, v20
	v_bfe_u32 v28, v20, 20, 11
	v_and_or_b32 v22, 0x8000, v27, v25
	v_mul_f16_sdwa v27, v66, v31 dst_sel:DWORD dst_unused:UNUSED_PAD src0_sel:WORD_1 src1_sel:DWORD
	v_cndmask_b32_e64 v17, 0, 1, vcc_lo
	v_cmp_ne_u32_e32 vcc_lo, 0, v19
	v_lshl_or_b32 v26, v30, 16, v26
	v_lshrrev_b32_e32 v30, 16, v18
	v_fmac_f16_e32 v27, v66, v12
	v_lshl_or_b32 v17, v17, 9, 0x7c00
	v_cndmask_b32_e64 v19, 0, 1, vcc_lo
	v_cmp_gt_i32_e32 vcc_lo, 31, v33
	v_and_b32_e32 v34, 0xffff, v22
	global_store_dword v[23:24], v29, off
	v_mul_f16_sdwa v12, v66, v12 dst_sel:DWORD dst_unused:UNUSED_PAD src0_sel:WORD_1 src1_sel:DWORD
	v_and_or_b32 v19, 0xffe, v21, v19
	v_sub_nc_u32_e32 v21, 0x3f1, v28
	v_cndmask_b32_e32 v13, 0x7c00, v13, vcc_lo
	v_cmp_eq_u32_e32 vcc_lo, 0x40f, v33
	v_and_or_b32 v15, 0x1ff, v16, v15
	v_or_b32_e32 v25, 0x1000, v19
	v_med3_i32 v21, v21, 0, 13
	v_bfe_u32 v35, v16, 20, 11
	v_cndmask_b32_e32 v13, v13, v17, vcc_lo
	v_add_co_u32 v17, vcc_lo, v23, s5
	v_lshrrev_b32_e32 v32, v21, v25
	v_add_co_ci_u32_e32 v18, vcc_lo, s4, v24, vcc_lo
	v_cmp_ne_u32_e32 vcc_lo, 0, v15
	v_and_or_b32 v30, 0x8000, v30, v13
	v_lshlrev_b32_e32 v33, v21, v32
	v_cvt_f32_f16_e32 v13, v27
	v_lshrrev_b32_e32 v27, 8, v16
	v_cndmask_b32_e64 v15, 0, 1, vcc_lo
	v_sub_nc_u32_e32 v23, 0x3f1, v35
	v_cmp_ne_u32_e32 vcc_lo, v33, v25
	v_cvt_f64_f32_e32 v[21:22], v13
	v_add_nc_u32_e32 v25, 0xfffffc10, v28
	v_and_or_b32 v15, 0xffe, v27, v15
	v_fma_f16 v12, v66, v31, -v12
	v_cndmask_b32_e64 v13, 0, 1, vcc_lo
	v_med3_i32 v23, v23, 0, 13
	v_lshl_or_b32 v24, v25, 12, v19
	v_cmp_gt_i32_e32 vcc_lo, 1, v25
	v_or_b32_e32 v27, 0x1000, v15
	v_or_b32_e32 v13, v32, v13
	v_cvt_f32_f16_e32 v28, v12
	global_store_dword v[17:18], v26, off
	s_mul_hi_u32 s0, s8, 0xffff92a0
	v_lshrrev_b32_e32 v26, v23, v27
	v_cndmask_b32_e32 v24, v24, v13, vcc_lo
	s_sub_i32 s6, s0, s8
	s_mul_i32 s1, s9, 0xffff92a0
	v_lshl_or_b32 v30, v30, 16, v34
	v_lshlrev_b32_e32 v23, v23, v26
	v_and_b32_e32 v29, 7, v24
	v_lshrrev_b32_e32 v24, 2, v24
	s_add_i32 s6, s6, s1
	v_mul_f64 v[12:13], v[21:22], s[2:3]
	v_cvt_f64_f32_e32 v[21:22], v28
	v_cmp_lt_i32_e32 vcc_lo, 5, v29
	v_cmp_eq_u32_e64 s0, 3, v29
	v_cmp_ne_u32_e64 s1, v23, v27
	v_add_nc_u32_e32 v27, 0xfffffc10, v35
	v_lshrrev_b32_e32 v35, 16, v20
	v_lshrrev_b32_e32 v16, 16, v16
	s_or_b32 vcc_lo, s0, vcc_lo
	v_cndmask_b32_e64 v23, 0, 1, s1
	v_add_co_ci_u32_e32 v24, vcc_lo, 0, v24, vcc_lo
	v_cmp_ne_u32_e32 vcc_lo, 0, v19
	v_or_b32_e32 v23, v26, v23
	v_lshl_or_b32 v26, v27, 12, v15
	v_cndmask_b32_e64 v19, 0, 1, vcc_lo
	v_cmp_gt_i32_e32 vcc_lo, 31, v25
	v_and_or_b32 v12, 0x1ff, v13, v12
	v_cndmask_b32_e32 v28, 0x7c00, v24, vcc_lo
	v_cmp_gt_i32_e32 vcc_lo, 1, v27
	v_mul_f64 v[21:22], v[21:22], s[2:3]
	v_lshl_or_b32 v19, v19, 9, 0x7c00
	v_lshrrev_b32_e32 v29, 8, v13
	v_bfe_u32 v31, v13, 20, 11
	v_cndmask_b32_e32 v23, v26, v23, vcc_lo
	s_waitcnt lgkmcnt(4)
	v_lshrrev_b32_e32 v26, 16, v14
	v_cmp_ne_u32_e32 vcc_lo, 0, v12
	v_lshrrev_b32_e32 v13, 16, v13
	v_and_b32_e32 v24, 7, v23
	v_mul_f16_sdwa v32, v65, v26 dst_sel:DWORD dst_unused:UNUSED_PAD src0_sel:WORD_1 src1_sel:DWORD
	v_cndmask_b32_e64 v12, 0, 1, vcc_lo
	v_add_co_u32 v17, vcc_lo, v17, s7
	v_add_co_ci_u32_e32 v18, vcc_lo, s6, v18, vcc_lo
	v_cmp_lt_i32_e32 vcc_lo, 5, v24
	v_cmp_eq_u32_e64 s0, 3, v24
	v_fmac_f16_e32 v32, v65, v14
	v_lshrrev_b32_e32 v23, 2, v23
	v_and_or_b32 v12, 0xffe, v29, v12
	v_sub_nc_u32_e32 v29, 0x3f1, v31
	s_or_b32 vcc_lo, s0, vcc_lo
	v_cvt_f32_f16_e32 v24, v32
	v_add_co_ci_u32_e32 v32, vcc_lo, 0, v23, vcc_lo
	v_cmp_eq_u32_e32 vcc_lo, 0x40f, v25
	v_and_or_b32 v21, 0x1ff, v22, v21
	v_cvt_f64_f32_e32 v[23:24], v24
	v_or_b32_e32 v33, 0x1000, v12
	v_med3_i32 v29, v29, 0, 13
	v_cndmask_b32_e32 v25, v28, v19, vcc_lo
	v_cmp_ne_u32_e32 vcc_lo, 0, v15
	v_bfe_u32 v28, v22, 20, 11
	v_mul_f16_sdwa v14, v65, v14 dst_sel:DWORD dst_unused:UNUSED_PAD src0_sel:WORD_1 src1_sel:DWORD
	v_lshrrev_b32_e32 v34, v29, v33
	v_and_or_b32 v25, 0x8000, v35, v25
	v_cndmask_b32_e64 v15, 0, 1, vcc_lo
	v_cmp_ne_u32_e32 vcc_lo, 0, v21
	v_lshrrev_b32_e32 v21, 8, v22
	v_lshlrev_b32_e32 v29, v29, v34
	v_fma_f16 v14, v65, v26, -v14
	v_lshl_or_b32 v15, v15, 9, 0x7c00
	v_cndmask_b32_e64 v19, 0, 1, vcc_lo
	v_cmp_gt_i32_e32 vcc_lo, 31, v27
	v_and_b32_e32 v25, 0xffff, v25
	v_cvt_f32_f16_e32 v14, v14
	global_store_dword v[17:18], v30, off
	v_and_or_b32 v21, 0xffe, v21, v19
	v_cndmask_b32_e32 v32, 0x7c00, v32, vcc_lo
	v_sub_nc_u32_e32 v19, 0x3f1, v28
	v_cmp_eq_u32_e32 vcc_lo, 0x40f, v27
	v_add_nc_u32_e32 v28, 0xfffffc10, v28
	v_lshrrev_b32_e32 v22, 16, v22
	v_mul_f16_sdwa v35, v63, v9 dst_sel:DWORD dst_unused:UNUSED_PAD src0_sel:WORD_1 src1_sel:DWORD
	v_cndmask_b32_e32 v15, v32, v15, vcc_lo
	v_cmp_ne_u32_e32 vcc_lo, v29, v33
	v_or_b32_e32 v29, 0x1000, v21
	v_med3_i32 v32, v19, 0, 13
	v_mul_f64 v[19:20], v[23:24], s[2:3]
	v_add_nc_u32_e32 v23, 0xfffffc10, v31
	v_cndmask_b32_e64 v27, 0, 1, vcc_lo
	v_and_or_b32 v16, 0x8000, v16, v15
	v_lshrrev_b32_e32 v24, v32, v29
	v_cvt_f64_f32_e32 v[14:15], v14
	v_cmp_gt_i32_e32 vcc_lo, 1, v23
	v_or_b32_e32 v26, v34, v27
	v_lshl_or_b32 v27, v23, 12, v12
	v_lshlrev_b32_e32 v31, v32, v24
	v_lshl_or_b32 v25, v16, 16, v25
	v_cmp_gt_i32_e64 s1, 1, v28
	v_cndmask_b32_e32 v26, v27, v26, vcc_lo
	v_cmp_ne_u32_e32 vcc_lo, v31, v29
	v_and_b32_e32 v29, 7, v26
	v_cndmask_b32_e64 v27, 0, 1, vcc_lo
	v_lshrrev_b32_e32 v26, 2, v26
	v_and_or_b32 v16, 0x1ff, v20, v19
	v_cmp_lt_i32_e32 vcc_lo, 5, v29
	v_or_b32_e32 v19, v24, v27
	v_lshl_or_b32 v24, v28, 12, v21
	v_cmp_eq_u32_e64 s0, 3, v29
	v_bfe_u32 v27, v20, 20, 11
	v_mul_f64 v[14:15], v[14:15], s[2:3]
	v_cndmask_b32_e64 v19, v24, v19, s1
	s_or_b32 vcc_lo, s0, vcc_lo
	v_cmp_ne_u32_e64 s1, 0, v16
	v_add_co_ci_u32_e32 v26, vcc_lo, 0, v26, vcc_lo
	v_and_b32_e32 v29, 7, v19
	v_cmp_ne_u32_e32 vcc_lo, 0, v12
	v_cndmask_b32_e64 v16, 0, 1, s1
	v_lshrrev_b32_e32 v24, 8, v20
	v_lshrrev_b32_e32 v19, 2, v19
	v_cmp_eq_u32_e64 s0, 3, v29
	v_cndmask_b32_e64 v12, 0, 1, vcc_lo
	v_cmp_lt_i32_e32 vcc_lo, 5, v29
	v_and_or_b32 v16, 0xffe, v24, v16
	v_sub_nc_u32_e32 v24, 0x3f1, v27
	v_cmp_gt_i32_e64 s1, 31, v23
	v_lshl_or_b32 v12, v12, 9, 0x7c00
	s_or_b32 vcc_lo, s0, vcc_lo
	v_or_b32_e32 v30, 0x1000, v16
	v_add_co_ci_u32_e32 v19, vcc_lo, 0, v19, vcc_lo
	v_med3_i32 v24, v24, 0, 13
	v_cndmask_b32_e64 v26, 0x7c00, v26, s1
	v_cmp_eq_u32_e32 vcc_lo, 0x40f, v23
	v_lshrrev_b32_e32 v29, 16, v10
	v_and_or_b32 v14, 0x1ff, v15, v14
	v_lshrrev_b32_e32 v31, v24, v30
	v_add_nc_u32_e32 v27, 0xfffffc10, v27
	v_cndmask_b32_e32 v12, v26, v12, vcc_lo
	v_cmp_gt_i32_e32 vcc_lo, 31, v28
	v_mul_f16_sdwa v32, v64, v29 dst_sel:DWORD dst_unused:UNUSED_PAD src0_sel:WORD_1 src1_sel:DWORD
	v_lshlrev_b32_e32 v24, v24, v31
	v_cndmask_b32_e32 v19, 0x7c00, v19, vcc_lo
	v_cmp_ne_u32_e32 vcc_lo, 0, v21
	v_fmac_f16_e32 v32, v64, v10
	v_mul_f16_sdwa v10, v64, v10 dst_sel:DWORD dst_unused:UNUSED_PAD src0_sel:WORD_1 src1_sel:DWORD
	v_cndmask_b32_e64 v21, 0, 1, vcc_lo
	v_cmp_ne_u32_e32 vcc_lo, v24, v30
	v_cvt_f32_f16_e32 v23, v32
	v_lshrrev_b32_e32 v30, 8, v15
	v_bfe_u32 v32, v15, 20, 11
	v_lshl_or_b32 v21, v21, 9, 0x7c00
	v_cndmask_b32_e64 v26, 0, 1, vcc_lo
	v_cmp_ne_u32_e32 vcc_lo, 0, v14
	v_cvt_f64_f32_e32 v[23:24], v23
	v_fma_f16 v10, v64, v29, -v10
	v_and_or_b32 v29, 0x8000, v13, v12
	v_or_b32_e32 v26, v31, v26
	v_cndmask_b32_e64 v14, 0, 1, vcc_lo
	v_lshl_or_b32 v31, v27, 12, v16
	v_cmp_gt_i32_e32 vcc_lo, 1, v27
	v_cvt_f32_f16_e32 v10, v10
	v_and_or_b32 v14, 0xffe, v30, v14
	v_sub_nc_u32_e32 v30, 0x3f1, v32
	v_cndmask_b32_e32 v26, v31, v26, vcc_lo
	v_cmp_eq_u32_e32 vcc_lo, 0x40f, v28
	v_or_b32_e32 v28, 0x1000, v14
	v_cndmask_b32_e32 v19, v19, v21, vcc_lo
	v_med3_i32 v21, v30, 0, 13
	v_and_b32_e32 v30, 7, v26
	v_mul_f64 v[12:13], v[23:24], s[2:3]
	v_lshrrev_b32_e32 v31, v21, v28
	v_cmp_lt_i32_e32 vcc_lo, 5, v30
	v_cmp_eq_u32_e64 s0, 3, v30
	v_lshrrev_b32_e32 v24, 2, v26
	v_and_or_b32 v19, 0x8000, v22, v19
	v_lshlrev_b32_e32 v23, v21, v31
	v_cvt_f64_f32_e32 v[21:22], v10
	s_or_b32 vcc_lo, s0, vcc_lo
	v_and_b32_e32 v26, 0xffff, v29
	v_add_co_ci_u32_e32 v10, vcc_lo, 0, v24, vcc_lo
	v_cmp_ne_u32_e32 vcc_lo, v23, v28
	v_add_nc_u32_e32 v24, 0xfffffc10, v32
	v_lshl_or_b32 v26, v19, 16, v26
	v_cndmask_b32_e64 v23, 0, 1, vcc_lo
	v_cmp_ne_u32_e32 vcc_lo, 0, v16
	v_lshl_or_b32 v28, v24, 12, v14
	v_or_b32_e32 v23, v31, v23
	v_cndmask_b32_e64 v16, 0, 1, vcc_lo
	v_cmp_gt_i32_e32 vcc_lo, 31, v27
	v_and_or_b32 v12, 0x1ff, v13, v12
	v_lshl_or_b32 v29, v16, 9, 0x7c00
	v_cndmask_b32_e32 v10, 0x7c00, v10, vcc_lo
	v_cmp_gt_i32_e32 vcc_lo, 1, v24
	v_cndmask_b32_e32 v23, v28, v23, vcc_lo
	v_add_co_u32 v16, vcc_lo, v17, s5
	v_add_co_ci_u32_e32 v17, vcc_lo, s4, v18, vcc_lo
	v_cmp_ne_u32_e32 vcc_lo, 0, v12
	v_mul_f64 v[18:19], v[21:22], s[2:3]
	v_and_b32_e32 v28, 7, v23
	v_lshrrev_b32_e32 v21, 8, v13
	v_bfe_u32 v22, v13, 20, 11
	v_cndmask_b32_e64 v12, 0, 1, vcc_lo
	v_cmp_eq_u32_e32 vcc_lo, 0x40f, v27
	v_cmp_eq_u32_e64 s0, 3, v28
	v_lshrrev_b32_e32 v27, 16, v20
	v_sub_nc_u32_e32 v20, 0x3f1, v22
	v_and_or_b32 v12, 0xffe, v21, v12
	v_cndmask_b32_e32 v10, v10, v29, vcc_lo
	v_cmp_lt_i32_e32 vcc_lo, 5, v28
	v_lshrrev_b32_e32 v21, 2, v23
	v_lshrrev_b32_e32 v29, 16, v9
	v_or_b32_e32 v23, 0x1000, v12
	v_med3_i32 v20, v20, 0, 13
	s_or_b32 vcc_lo, s0, vcc_lo
	v_add_nc_u32_e32 v22, 0xfffffc10, v22
	v_add_co_ci_u32_e32 v21, vcc_lo, 0, v21, vcc_lo
	v_cmp_ne_u32_e32 vcc_lo, 0, v14
	v_mul_f16_sdwa v28, v63, v29 dst_sel:DWORD dst_unused:UNUSED_PAD src0_sel:WORD_1 src1_sel:DWORD
	v_and_or_b32 v18, 0x1ff, v19, v18
	v_lshrrev_b32_e32 v30, v20, v23
	v_bfe_u32 v33, v19, 20, 11
	v_cndmask_b32_e64 v14, 0, 1, vcc_lo
	v_cmp_gt_i32_e32 vcc_lo, 31, v24
	v_fmac_f16_e32 v28, v63, v9
	v_lshlrev_b32_e32 v32, v20, v30
	v_and_or_b32 v27, 0x8000, v27, v10
	v_lshl_or_b32 v14, v14, 9, 0x7c00
	v_cndmask_b32_e32 v31, 0x7c00, v21, vcc_lo
	v_cmp_ne_u32_e32 vcc_lo, 0, v18
	v_cvt_f32_f16_e32 v28, v28
	v_and_b32_e32 v27, 0xffff, v27
	v_lshrrev_b32_e32 v13, 16, v13
	v_cndmask_b32_e64 v18, 0, 1, vcc_lo
	v_cmp_eq_u32_e32 vcc_lo, 0x40f, v24
	v_cvt_f64_f32_e32 v[20:21], v28
	v_lshrrev_b32_e32 v28, 8, v19
	v_lshrrev_b32_e32 v19, 16, v19
	v_cndmask_b32_e32 v24, v31, v14, vcc_lo
	v_cmp_ne_u32_e32 vcc_lo, v32, v23
	v_and_or_b32 v18, 0xffe, v28, v18
	v_sub_nc_u32_e32 v23, 0x3f1, v33
	v_lshrrev_b32_e32 v28, 16, v15
	v_lshl_or_b32 v31, v22, 12, v12
	v_cndmask_b32_e64 v14, 0, 1, vcc_lo
	v_or_b32_e32 v32, 0x1000, v18
	v_med3_i32 v23, v23, 0, 13
	v_and_or_b32 v24, 0x8000, v28, v24
	v_or_b32_e32 v30, v30, v14
	v_add_co_u32 v14, vcc_lo, v16, s5
	v_add_co_ci_u32_e32 v15, vcc_lo, s4, v17, vcc_lo
	v_lshrrev_b32_e32 v34, v23, v32
	v_cmp_gt_i32_e32 vcc_lo, 1, v22
	v_mul_f64 v[9:10], v[20:21], s[2:3]
	v_fma_f16 v21, v63, v29, -v35
	global_store_dword v[16:17], v25, off
	global_store_dword v[14:15], v26, off
	v_lshlrev_b32_e32 v20, v23, v34
	v_cndmask_b32_e32 v30, v31, v30, vcc_lo
	s_waitcnt lgkmcnt(1)
	v_mul_f16_sdwa v31, v61, v11 dst_sel:DWORD dst_unused:UNUSED_PAD src0_sel:WORD_1 src1_sel:DWORD
	v_cvt_f32_f16_e32 v16, v21
	v_add_nc_u32_e32 v21, 0xfffffc10, v33
	v_cmp_ne_u32_e64 s0, v20, v32
	v_and_b32_e32 v23, 7, v30
	v_cvt_f64_f32_e32 v[16:17], v16
	v_lshl_or_b32 v25, v21, 12, v18
	v_cndmask_b32_e64 v20, 0, 1, s0
	v_cmp_lt_i32_e32 vcc_lo, 5, v23
	v_cmp_eq_u32_e64 s0, 3, v23
	v_lshl_or_b32 v23, v24, 16, v27
	v_lshrrev_b32_e32 v24, 2, v30
	v_or_b32_e32 v20, v34, v20
	s_or_b32 vcc_lo, s0, vcc_lo
	v_add_co_ci_u32_e32 v24, vcc_lo, 0, v24, vcc_lo
	v_cmp_ne_u32_e32 vcc_lo, 0, v12
	v_and_or_b32 v9, 0x1ff, v10, v9
	v_lshrrev_b32_e32 v26, 8, v10
	v_bfe_u32 v27, v10, 20, 11
	v_cndmask_b32_e64 v12, 0, 1, vcc_lo
	v_cmp_gt_i32_e32 vcc_lo, 1, v21
	v_mul_f64 v[16:17], v[16:17], s[2:3]
	v_lshl_or_b32 v12, v12, 9, 0x7c00
	v_cndmask_b32_e32 v20, v25, v20, vcc_lo
	v_cmp_gt_i32_e32 vcc_lo, 31, v22
	v_and_b32_e32 v25, 7, v20
	v_cndmask_b32_e32 v24, 0x7c00, v24, vcc_lo
	v_cmp_ne_u32_e32 vcc_lo, 0, v9
	v_lshrrev_b32_e32 v20, 2, v20
	v_cmp_eq_u32_e64 s0, 3, v25
	v_cndmask_b32_e64 v9, 0, 1, vcc_lo
	v_add_co_u32 v14, vcc_lo, v14, s5
	v_add_co_ci_u32_e32 v15, vcc_lo, s4, v15, vcc_lo
	v_cmp_eq_u32_e32 vcc_lo, 0x40f, v22
	v_and_or_b32 v22, 0xffe, v26, v9
	v_sub_nc_u32_e32 v9, 0x3f1, v27
	v_and_or_b32 v16, 0x1ff, v17, v16
	global_store_dword v[14:15], v23, off
	v_cndmask_b32_e32 v12, v24, v12, vcc_lo
	v_cmp_lt_i32_e32 vcc_lo, 5, v25
	v_lshrrev_b32_e32 v24, 16, v8
	v_or_b32_e32 v25, 0x1000, v22
	v_med3_i32 v9, v9, 0, 13
	v_and_or_b32 v29, 0x8000, v13, v12
	s_or_b32 vcc_lo, s0, vcc_lo
	v_mul_f16_sdwa v26, v62, v24 dst_sel:DWORD dst_unused:UNUSED_PAD src0_sel:WORD_1 src1_sel:DWORD
	v_add_co_ci_u32_e32 v20, vcc_lo, 0, v20, vcc_lo
	v_cmp_ne_u32_e32 vcc_lo, 0, v18
	v_lshrrev_b32_e32 v28, v9, v25
	v_fmac_f16_e32 v26, v62, v8
	v_mul_f16_sdwa v8, v62, v8 dst_sel:DWORD dst_unused:UNUSED_PAD src0_sel:WORD_1 src1_sel:DWORD
	v_cndmask_b32_e64 v18, 0, 1, vcc_lo
	v_cmp_gt_i32_e32 vcc_lo, 31, v21
	v_cvt_f32_f16_e32 v26, v26
	v_lshlrev_b32_e32 v9, v9, v28
	v_fma_f16 v24, v62, v24, -v8
	v_lshl_or_b32 v18, v18, 9, 0x7c00
	v_cndmask_b32_e32 v20, 0x7c00, v20, vcc_lo
	v_cmp_eq_u32_e32 vcc_lo, 0x40f, v21
	v_cvt_f64_f32_e32 v[12:13], v26
	v_bfe_u32 v21, v17, 20, 11
	v_cndmask_b32_e32 v18, v20, v18, vcc_lo
	v_cmp_ne_u32_e32 vcc_lo, 0, v16
	v_lshrrev_b32_e32 v20, 8, v17
	v_lshrrev_b32_e32 v17, 16, v17
	v_and_or_b32 v18, 0x8000, v19, v18
	v_cndmask_b32_e64 v16, 0, 1, vcc_lo
	v_cmp_ne_u32_e32 vcc_lo, v9, v25
	v_add_nc_u32_e32 v25, 0xfffffc10, v27
	v_and_b32_e32 v19, 0xffff, v29
	v_and_or_b32 v16, 0xffe, v20, v16
	v_cndmask_b32_e64 v9, 0, 1, vcc_lo
	v_sub_nc_u32_e32 v20, 0x3f1, v21
	v_lshl_or_b32 v26, v25, 12, v22
	v_cmp_gt_i32_e32 vcc_lo, 1, v25
	v_or_b32_e32 v27, 0x1000, v16
	v_or_b32_e32 v9, v28, v9
	v_med3_i32 v20, v20, 0, 13
	v_lshl_or_b32 v18, v18, 16, v19
	v_add_nc_u32_e32 v21, 0xfffffc10, v21
	v_cndmask_b32_e32 v26, v26, v9, vcc_lo
	v_lshrrev_b32_e32 v28, v20, v27
	v_mul_f64 v[8:9], v[12:13], s[2:3]
	v_cvt_f32_f16_e32 v12, v24
	v_add_co_u32 v14, vcc_lo, v14, s7
	v_lshlrev_b32_e32 v19, v20, v28
	v_and_b32_e32 v20, 7, v26
	v_cvt_f64_f32_e32 v[12:13], v12
	v_add_co_ci_u32_e32 v15, vcc_lo, s6, v15, vcc_lo
	v_cmp_ne_u32_e64 s1, v19, v27
	v_cmp_lt_i32_e32 vcc_lo, 5, v20
	v_cmp_eq_u32_e64 s0, 3, v20
	v_lshrrev_b32_e32 v20, 2, v26
	v_lshl_or_b32 v23, v21, 12, v16
	v_cndmask_b32_e64 v19, 0, 1, s1
	v_lshrrev_b32_e32 v26, 16, v11
	s_or_b32 vcc_lo, s0, vcc_lo
	global_store_dword v[14:15], v18, off
	v_add_co_ci_u32_e32 v20, vcc_lo, 0, v20, vcc_lo
	v_cmp_ne_u32_e32 vcc_lo, 0, v22
	v_or_b32_e32 v19, v28, v19
	v_and_or_b32 v8, 0x1ff, v9, v8
	v_bfe_u32 v24, v9, 20, 11
	v_cmp_eq_u32_e64 s1, 0x40f, v25
	v_cndmask_b32_e64 v22, 0, 1, vcc_lo
	v_cmp_gt_i32_e32 vcc_lo, 31, v25
	v_mul_f64 v[12:13], v[12:13], s[2:3]
	v_sub_nc_u32_e32 v18, 0x3f1, v24
	v_lshl_or_b32 v22, v22, 9, 0x7c00
	v_cndmask_b32_e32 v20, 0x7c00, v20, vcc_lo
	v_cmp_gt_i32_e32 vcc_lo, 1, v21
	v_add_nc_u32_e32 v24, 0xfffffc10, v24
	v_med3_i32 v28, v18, 0, 13
	v_cndmask_b32_e64 v20, v20, v22, s1
	v_cndmask_b32_e32 v19, v23, v19, vcc_lo
	v_cmp_ne_u32_e32 vcc_lo, 0, v8
	v_lshrrev_b32_e32 v23, 8, v9
	v_and_b32_e32 v27, 7, v19
	v_cndmask_b32_e64 v8, 0, 1, vcc_lo
	v_lshrrev_b32_e32 v18, 2, v19
	v_cmp_lt_i32_e32 vcc_lo, 5, v27
	v_and_or_b32 v8, 0xffe, v23, v8
	v_mul_f16_sdwa v23, v61, v26 dst_sel:DWORD dst_unused:UNUSED_PAD src0_sel:WORD_1 src1_sel:DWORD
	v_cmp_eq_u32_e64 s0, 3, v27
	v_and_or_b32 v12, 0x1ff, v13, v12
	v_bfe_u32 v29, v13, 20, 11
	v_or_b32_e32 v27, 0x1000, v8
	v_fmac_f16_e32 v23, v61, v11
	s_or_b32 vcc_lo, s0, vcc_lo
	v_lshrrev_b32_e32 v22, v28, v27
	v_cvt_f32_f16_e32 v19, v23
	v_add_co_ci_u32_e32 v23, vcc_lo, 0, v18, vcc_lo
	v_cmp_ne_u32_e32 vcc_lo, 0, v12
	v_lshlrev_b32_e32 v25, v28, v22
	v_lshrrev_b32_e32 v28, 16, v10
	v_cvt_f64_f32_e32 v[18:19], v19
	v_lshrrev_b32_e32 v12, 8, v13
	v_cndmask_b32_e64 v10, 0, 1, vcc_lo
	v_cmp_gt_i32_e32 vcc_lo, 31, v21
	v_and_or_b32 v20, 0x8000, v28, v20
	v_lshrrev_b32_e32 v13, 16, v13
	v_and_or_b32 v12, 0xffe, v12, v10
	v_cndmask_b32_e32 v23, 0x7c00, v23, vcc_lo
	v_cmp_ne_u32_e32 vcc_lo, 0, v16
	v_sub_nc_u32_e32 v10, 0x3f1, v29
	v_and_b32_e32 v20, 0xffff, v20
	v_cndmask_b32_e64 v16, 0, 1, vcc_lo
	v_cmp_ne_u32_e32 vcc_lo, v25, v27
	v_med3_i32 v30, v10, 0, 13
	v_or_b32_e32 v27, 0x1000, v12
	v_lshl_or_b32 v16, v16, 9, 0x7c00
	v_cndmask_b32_e64 v25, 0, 1, vcc_lo
	v_cmp_gt_i32_e32 vcc_lo, 1, v24
	v_mul_f64 v[10:11], v[18:19], s[2:3]
	v_lshrrev_b32_e32 v18, v30, v27
	v_or_b32_e32 v22, v22, v25
	v_lshl_or_b32 v25, v24, 12, v8
	v_cndmask_b32_e32 v19, v25, v22, vcc_lo
	v_cmp_eq_u32_e32 vcc_lo, 0x40f, v21
	v_fma_f16 v21, v61, v26, -v31
	v_and_b32_e32 v22, 7, v19
	v_cndmask_b32_e32 v16, v23, v16, vcc_lo
	v_lshrrev_b32_e32 v19, 2, v19
	v_cvt_f32_f16_e32 v21, v21
	v_lshlrev_b32_e32 v23, v30, v18
	v_cmp_lt_i32_e32 vcc_lo, 5, v22
	v_cmp_eq_u32_e64 s0, 3, v22
	v_and_or_b32 v25, 0x8000, v17, v16
	v_cvt_f64_f32_e32 v[16:17], v21
	v_cmp_ne_u32_e64 s1, v23, v27
	v_and_or_b32 v10, 0x1ff, v11, v10
	s_or_b32 vcc_lo, s0, vcc_lo
	v_add_nc_u32_e32 v22, 0xfffffc10, v29
	v_add_co_ci_u32_e32 v19, vcc_lo, 0, v19, vcc_lo
	v_cmp_ne_u32_e32 vcc_lo, 0, v8
	v_cndmask_b32_e64 v21, 0, 1, s1
	v_lshrrev_b32_e32 v23, 8, v11
	v_lshrrev_b32_e32 v27, 16, v5
	v_bfe_u32 v26, v11, 20, 11
	v_cndmask_b32_e64 v8, 0, 1, vcc_lo
	v_cmp_gt_i32_e32 vcc_lo, 31, v24
	v_or_b32_e32 v18, v18, v21
	v_lshl_or_b32 v21, v22, 12, v12
	v_lshl_or_b32 v20, v25, 16, v20
	;; [unrolled: 1-line block ×3, first 2 shown]
	v_cndmask_b32_e32 v19, 0x7c00, v19, vcc_lo
	v_cmp_ne_u32_e32 vcc_lo, 0, v10
	v_lshrrev_b32_e32 v11, 16, v11
	v_mul_f64 v[16:17], v[16:17], s[2:3]
	v_cndmask_b32_e64 v10, 0, 1, vcc_lo
	v_cmp_gt_i32_e32 vcc_lo, 1, v22
	v_and_or_b32 v10, 0xffe, v23, v10
	v_cndmask_b32_e32 v18, v21, v18, vcc_lo
	v_mul_f16_sdwa v23, v60, v27 dst_sel:DWORD dst_unused:UNUSED_PAD src0_sel:WORD_1 src1_sel:DWORD
	v_cmp_eq_u32_e32 vcc_lo, 0x40f, v24
	v_sub_nc_u32_e32 v21, 0x3f1, v26
	v_or_b32_e32 v29, 0x1000, v10
	v_and_b32_e32 v28, 7, v18
	v_fmac_f16_e32 v23, v60, v5
	v_cndmask_b32_e32 v19, v19, v8, vcc_lo
	v_lshrrev_b32_e32 v18, 2, v18
	v_med3_i32 v21, v21, 0, 13
	v_cmp_lt_i32_e32 vcc_lo, 5, v28
	v_cmp_eq_u32_e64 s0, 3, v28
	v_cvt_f32_f16_e32 v8, v23
	v_lshrrev_b32_e32 v23, 16, v9
	v_lshrrev_b32_e32 v24, v21, v29
	v_and_or_b32 v16, 0x1ff, v17, v16
	s_or_b32 vcc_lo, s0, vcc_lo
	v_cvt_f64_f32_e32 v[8:9], v8
	v_add_co_ci_u32_e32 v18, vcc_lo, 0, v18, vcc_lo
	v_cmp_ne_u32_e32 vcc_lo, 0, v12
	v_lshlrev_b32_e32 v21, v21, v24
	v_add_nc_u32_e32 v26, 0xfffffc10, v26
	v_and_or_b32 v19, 0x8000, v23, v19
	v_lshrrev_b32_e32 v23, 8, v17
	v_cndmask_b32_e64 v12, 0, 1, vcc_lo
	v_cmp_gt_i32_e32 vcc_lo, 31, v22
	v_bfe_u32 v28, v17, 20, 11
	v_mul_f16_sdwa v5, v60, v5 dst_sel:DWORD dst_unused:UNUSED_PAD src0_sel:WORD_1 src1_sel:DWORD
	v_and_b32_e32 v19, 0xffff, v19
	v_lshl_or_b32 v12, v12, 9, 0x7c00
	v_cndmask_b32_e32 v18, 0x7c00, v18, vcc_lo
	v_cmp_ne_u32_e32 vcc_lo, v21, v29
	v_fma_f16 v5, v60, v27, -v5
	v_cndmask_b32_e64 v21, 0, 1, vcc_lo
	v_cmp_ne_u32_e32 vcc_lo, 0, v16
	v_mul_f64 v[8:9], v[8:9], s[2:3]
	v_cvt_f32_f16_e32 v5, v5
	v_cndmask_b32_e64 v16, 0, 1, vcc_lo
	v_cmp_eq_u32_e32 vcc_lo, 0x40f, v22
	v_lshl_or_b32 v22, v26, 12, v10
	v_and_or_b32 v16, 0xffe, v23, v16
	v_cndmask_b32_e32 v12, v18, v12, vcc_lo
	v_or_b32_e32 v18, v24, v21
	v_cmp_gt_i32_e32 vcc_lo, 1, v26
	v_sub_nc_u32_e32 v21, 0x3f1, v28
	v_or_b32_e32 v23, 0x1000, v16
	v_and_or_b32 v24, 0x8000, v13, v12
	v_cvt_f64_f32_e32 v[12:13], v5
	v_cndmask_b32_e32 v18, v22, v18, vcc_lo
	v_med3_i32 v21, v21, 0, 13
	v_add_co_u32 v14, vcc_lo, v14, s5
	v_add_co_ci_u32_e32 v15, vcc_lo, s4, v15, vcc_lo
	v_and_b32_e32 v25, 7, v18
	v_lshrrev_b32_e32 v22, v21, v23
	v_and_or_b32 v5, 0x1ff, v9, v8
	v_lshrrev_b32_e32 v8, 2, v18
	v_lshl_or_b32 v19, v24, 16, v19
	v_cmp_lt_i32_e32 vcc_lo, 5, v25
	v_cmp_eq_u32_e64 s0, 3, v25
	v_lshlrev_b32_e32 v21, v21, v22
	v_bfe_u32 v25, v9, 20, 11
	v_lshrrev_b32_e32 v24, 16, v4
	s_or_b32 vcc_lo, s0, vcc_lo
	v_cmp_ne_u32_e64 s1, v21, v23
	v_add_co_ci_u32_e32 v8, vcc_lo, 0, v8, vcc_lo
	v_cmp_ne_u32_e32 vcc_lo, 0, v5
	v_add_nc_u32_e32 v21, 0xfffffc10, v28
	v_cndmask_b32_e64 v18, 0, 1, s1
	v_lshrrev_b32_e32 v23, 8, v9
	v_mul_f64 v[12:13], v[12:13], s[2:3]
	v_cndmask_b32_e64 v5, 0, 1, vcc_lo
	v_cmp_ne_u32_e32 vcc_lo, 0, v10
	v_or_b32_e32 v18, v22, v18
	v_lshl_or_b32 v22, v21, 12, v16
	v_cmp_eq_u32_e64 s1, 0x40f, v21
	v_cndmask_b32_e64 v10, 0, 1, vcc_lo
	v_cmp_gt_i32_e32 vcc_lo, 1, v21
	v_lshl_or_b32 v10, v10, 9, 0x7c00
	v_cndmask_b32_e32 v18, v22, v18, vcc_lo
	v_and_or_b32 v22, 0xffe, v23, v5
	v_sub_nc_u32_e32 v5, 0x3f1, v25
	v_cmp_gt_i32_e32 vcc_lo, 31, v26
	v_and_b32_e32 v27, 7, v18
	v_or_b32_e32 v23, 0x1000, v22
	v_med3_i32 v5, v5, 0, 13
	v_cndmask_b32_e32 v8, 0x7c00, v8, vcc_lo
	v_cmp_eq_u32_e32 vcc_lo, 0x40f, v26
	v_cmp_eq_u32_e64 s0, 3, v27
	v_lshrrev_b32_e32 v18, 2, v18
	v_mul_f16_sdwa v26, v59, v24 dst_sel:DWORD dst_unused:UNUSED_PAD src0_sel:WORD_1 src1_sel:DWORD
	v_cndmask_b32_e32 v8, v8, v10, vcc_lo
	v_lshrrev_b32_e32 v10, v5, v23
	v_cmp_lt_i32_e32 vcc_lo, 5, v27
	v_fmac_f16_e32 v26, v59, v4
	v_bfe_u32 v27, v13, 20, 11
	v_and_or_b32 v8, 0x8000, v11, v8
	v_lshlrev_b32_e32 v5, v5, v10
	s_or_b32 vcc_lo, s0, vcc_lo
	v_and_or_b32 v11, 0x1ff, v13, v12
	v_add_co_ci_u32_e32 v12, vcc_lo, 0, v18, vcc_lo
	v_cmp_ne_u32_e32 vcc_lo, v5, v23
	v_add_nc_u32_e32 v18, 0xfffffc10, v25
	v_cvt_f32_f16_e32 v23, v26
	v_lshrrev_b32_e32 v26, 8, v13
	v_mul_f16_sdwa v4, v59, v4 dst_sel:DWORD dst_unused:UNUSED_PAD src0_sel:WORD_1 src1_sel:DWORD
	v_cndmask_b32_e64 v5, 0, 1, vcc_lo
	v_cmp_ne_u32_e32 vcc_lo, 0, v11
	v_lshl_or_b32 v28, v18, 12, v22
	v_lshrrev_b32_e32 v13, 16, v13
	v_fma_f16 v4, v59, v24, -v4
	v_or_b32_e32 v5, v10, v5
	v_cndmask_b32_e64 v25, 0, 1, vcc_lo
	v_cmp_gt_i32_e32 vcc_lo, 1, v18
	v_cvt_f64_f32_e32 v[10:11], v23
	v_cvt_f32_f16_e32 v24, v4
	v_and_or_b32 v23, 0xffe, v26, v25
	v_sub_nc_u32_e32 v25, 0x3f1, v27
	v_cndmask_b32_e32 v5, v28, v5, vcc_lo
	v_cmp_ne_u32_e32 vcc_lo, 0, v16
	v_or_b32_e32 v26, 0x1000, v23
	v_med3_i32 v25, v25, 0, 13
	v_and_b32_e32 v28, 7, v5
	v_cndmask_b32_e64 v16, 0, 1, vcc_lo
	v_cmp_gt_i32_e32 vcc_lo, 31, v21
	v_lshrrev_b32_e32 v21, 2, v5
	v_lshrrev_b32_e32 v29, v25, v26
	v_cmp_eq_u32_e64 s0, 3, v28
	v_lshl_or_b32 v16, v16, 9, 0x7c00
	v_cndmask_b32_e32 v12, 0x7c00, v12, vcc_lo
	v_cmp_lt_i32_e32 vcc_lo, 5, v28
	v_cndmask_b32_e64 v12, v12, v16, s1
	v_lshlrev_b32_e32 v16, v25, v29
	s_or_b32 vcc_lo, s0, vcc_lo
	v_mul_f64 v[4:5], v[10:11], s[2:3]
	v_add_co_ci_u32_e32 v21, vcc_lo, 0, v21, vcc_lo
	v_cmp_ne_u32_e32 vcc_lo, v16, v26
	v_cvt_f64_f32_e32 v[10:11], v24
	v_add_nc_u32_e32 v24, 0xfffffc10, v27
	v_lshrrev_b32_e32 v25, 16, v17
	v_cndmask_b32_e64 v16, 0, 1, vcc_lo
	v_cmp_ne_u32_e32 vcc_lo, 0, v22
	v_lshl_or_b32 v27, v24, 12, v23
	v_and_or_b32 v12, 0x8000, v25, v12
	v_and_b32_e32 v25, 0xffff, v8
	v_or_b32_e32 v26, v29, v16
	v_cndmask_b32_e64 v22, 0, 1, vcc_lo
	v_cmp_gt_i32_e32 vcc_lo, 31, v18
	v_lshl_or_b32 v22, v22, 9, 0x7c00
	v_cndmask_b32_e32 v21, 0x7c00, v21, vcc_lo
	v_add_co_u32 v16, vcc_lo, v14, s5
	v_add_co_ci_u32_e32 v17, vcc_lo, s4, v15, vcc_lo
	v_cmp_gt_i32_e32 vcc_lo, 1, v24
	v_and_or_b32 v4, 0x1ff, v5, v4
	global_store_dword v[14:15], v20, off
	global_store_dword v[16:17], v19, off
	v_bfe_u32 v14, v5, 20, 11
	v_lshl_or_b32 v19, v12, 16, v25
	v_cndmask_b32_e32 v26, v27, v26, vcc_lo
	v_cmp_eq_u32_e32 vcc_lo, 0x40f, v18
	v_cmp_ne_u32_e64 s0, 0, v4
	v_lshrrev_b32_e32 v12, 16, v6
	v_lshrrev_b32_e32 v15, 2, v26
	v_cndmask_b32_e32 v18, v21, v22, vcc_lo
	v_lshrrev_b32_e32 v21, 16, v9
	v_mul_f64 v[8:9], v[10:11], s[2:3]
	v_and_b32_e32 v22, 7, v26
	v_cndmask_b32_e64 v4, 0, 1, s0
	v_lshrrev_b32_e32 v10, 8, v5
	v_mul_f16_sdwa v11, v58, v12 dst_sel:DWORD dst_unused:UNUSED_PAD src0_sel:WORD_1 src1_sel:DWORD
	v_and_or_b32 v18, 0x8000, v21, v18
	v_cmp_lt_i32_e32 vcc_lo, 5, v22
	v_cmp_eq_u32_e64 s0, 3, v22
	v_and_or_b32 v4, 0xffe, v10, v4
	v_sub_nc_u32_e32 v10, 0x3f1, v14
	v_fmac_f16_e32 v11, v58, v6
	v_mul_f16_sdwa v6, v58, v6 dst_sel:DWORD dst_unused:UNUSED_PAD src0_sel:WORD_1 src1_sel:DWORD
	s_or_b32 vcc_lo, s0, vcc_lo
	v_or_b32_e32 v20, 0x1000, v4
	v_add_co_ci_u32_e32 v15, vcc_lo, 0, v15, vcc_lo
	v_cmp_ne_u32_e32 vcc_lo, 0, v23
	v_med3_i32 v22, v10, 0, 13
	v_cvt_f32_f16_e32 v10, v11
	v_fma_f16 v6, v58, v12, -v6
	v_and_b32_e32 v18, 0xffff, v18
	v_cndmask_b32_e64 v23, 0, 1, vcc_lo
	v_and_or_b32 v8, 0x1ff, v9, v8
	v_cmp_gt_i32_e32 vcc_lo, 31, v24
	v_lshrrev_b32_e32 v25, v22, v20
	v_lshrrev_b32_e32 v26, 8, v9
	v_bfe_u32 v27, v9, 20, 11
	v_cvt_f64_f32_e32 v[10:11], v10
	v_cndmask_b32_e32 v15, 0x7c00, v15, vcc_lo
	v_cmp_ne_u32_e32 vcc_lo, 0, v8
	v_lshlrev_b32_e32 v22, v22, v25
	v_sub_nc_u32_e32 v21, 0x3f1, v27
	v_lshl_or_b32 v23, v23, 9, 0x7c00
	v_cvt_f32_f16_e32 v6, v6
	v_cndmask_b32_e64 v8, 0, 1, vcc_lo
	v_cmp_ne_u32_e32 vcc_lo, v22, v20
	v_add_nc_u32_e32 v22, 0xfffffc10, v14
	v_med3_i32 v21, v21, 0, 13
	v_lshrrev_b32_e32 v5, 16, v5
	v_and_or_b32 v8, 0xffe, v26, v8
	v_cndmask_b32_e64 v20, 0, 1, vcc_lo
	v_cmp_eq_u32_e32 vcc_lo, 0x40f, v24
	v_or_b32_e32 v14, 0x1000, v8
	v_or_b32_e32 v20, v25, v20
	v_cndmask_b32_e32 v15, v15, v23, vcc_lo
	v_lshl_or_b32 v23, v22, 12, v4
	v_cmp_gt_i32_e32 vcc_lo, 1, v22
	v_lshrrev_b32_e32 v24, v21, v14
	v_mul_f64 v[10:11], v[10:11], s[2:3]
	v_cndmask_b32_e32 v20, v23, v20, vcc_lo
	v_and_or_b32 v23, 0x8000, v13, v15
	v_lshlrev_b32_e32 v15, v21, v24
	v_add_co_u32 v12, vcc_lo, v16, s5
	v_and_b32_e32 v21, 7, v20
	v_add_co_ci_u32_e32 v13, vcc_lo, s4, v17, vcc_lo
	v_cmp_ne_u32_e64 s0, v15, v14
	v_cvt_f64_f32_e32 v[14:15], v6
	v_cmp_lt_i32_e32 vcc_lo, 5, v21
	v_lshrrev_b32_e32 v6, 2, v20
	v_add_nc_u32_e32 v17, 0xfffffc10, v27
	v_cndmask_b32_e64 v16, 0, 1, s0
	v_cmp_eq_u32_e64 s0, 3, v21
	v_lshl_or_b32 v18, v23, 16, v18
	global_store_dword v[12:13], v19, off
	v_lshl_or_b32 v20, v17, 12, v8
	v_or_b32_e32 v16, v24, v16
	s_or_b32 vcc_lo, s0, vcc_lo
	v_and_or_b32 v10, 0x1ff, v11, v10
	v_add_co_ci_u32_e32 v6, vcc_lo, 0, v6, vcc_lo
	v_cmp_ne_u32_e32 vcc_lo, 0, v4
	v_lshrrev_b32_e32 v21, 8, v11
	v_bfe_u32 v23, v11, 20, 11
	v_lshrrev_b32_e32 v11, 16, v11
	v_cndmask_b32_e64 v4, 0, 1, vcc_lo
	v_cmp_gt_i32_e32 vcc_lo, 1, v17
	v_mul_f64 v[14:15], v[14:15], s[2:3]
	v_lshl_or_b32 v4, v4, 9, 0x7c00
	v_cndmask_b32_e32 v16, v20, v16, vcc_lo
	v_cmp_gt_i32_e32 vcc_lo, 31, v22
	v_and_b32_e32 v20, 7, v16
	v_cndmask_b32_e32 v6, 0x7c00, v6, vcc_lo
	v_cmp_ne_u32_e32 vcc_lo, 0, v10
	v_lshrrev_b32_e32 v16, 2, v16
	v_cmp_eq_u32_e64 s0, 3, v20
	v_cndmask_b32_e64 v10, 0, 1, vcc_lo
	v_cmp_eq_u32_e32 vcc_lo, 0x40f, v22
	v_and_or_b32 v10, 0xffe, v21, v10
	v_cndmask_b32_e32 v4, v6, v4, vcc_lo
	v_cmp_lt_i32_e32 vcc_lo, 5, v20
	v_sub_nc_u32_e32 v6, 0x3f1, v23
	s_waitcnt lgkmcnt(0)
	v_lshrrev_b32_e32 v21, 16, v7
	v_or_b32_e32 v20, 0x1000, v10
	v_and_or_b32 v14, 0x1ff, v15, v14
	s_or_b32 vcc_lo, s0, vcc_lo
	v_med3_i32 v6, v6, 0, 13
	v_add_co_ci_u32_e32 v16, vcc_lo, 0, v16, vcc_lo
	v_cmp_ne_u32_e32 vcc_lo, 0, v8
	v_mul_f16_sdwa v22, v57, v21 dst_sel:DWORD dst_unused:UNUSED_PAD src0_sel:WORD_1 src1_sel:DWORD
	v_lshrrev_b32_e32 v24, v6, v20
	v_and_or_b32 v25, 0x8000, v5, v4
	v_cndmask_b32_e64 v8, 0, 1, vcc_lo
	v_cmp_gt_i32_e32 vcc_lo, 31, v17
	v_fmac_f16_e32 v22, v57, v7
	v_lshlrev_b32_e32 v6, v6, v24
	v_mul_f16_sdwa v7, v57, v7 dst_sel:DWORD dst_unused:UNUSED_PAD src0_sel:WORD_1 src1_sel:DWORD
	v_lshl_or_b32 v8, v8, 9, 0x7c00
	v_cndmask_b32_e32 v16, 0x7c00, v16, vcc_lo
	v_cmp_eq_u32_e32 vcc_lo, 0x40f, v17
	v_cvt_f32_f16_e32 v22, v22
	v_bfe_u32 v17, v15, 20, 11
	v_fma_f16 v7, v57, v21, -v7
	v_cndmask_b32_e32 v16, v16, v8, vcc_lo
	v_cmp_ne_u32_e32 vcc_lo, 0, v14
	v_lshrrev_b32_e32 v14, 8, v15
	v_cvt_f64_f32_e32 v[4:5], v22
	v_lshrrev_b32_e32 v22, 16, v9
	v_cvt_f32_f16_e32 v7, v7
	v_cndmask_b32_e64 v8, 0, 1, vcc_lo
	v_cmp_ne_u32_e32 vcc_lo, v6, v20
	v_add_nc_u32_e32 v20, 0xfffffc10, v23
	v_and_or_b32 v16, 0x8000, v22, v16
	v_and_b32_e32 v22, 0xffff, v25
	v_and_or_b32 v14, 0xffe, v14, v8
	v_sub_nc_u32_e32 v8, 0x3f1, v17
	v_cndmask_b32_e64 v6, 0, 1, vcc_lo
	v_lshl_or_b32 v23, v20, 12, v10
	v_add_nc_u32_e32 v17, 0xfffffc10, v17
	v_lshl_or_b32 v16, v16, 16, v22
	v_med3_i32 v26, v8, 0, 13
	v_add_co_u32 v8, vcc_lo, v12, s7
	v_add_co_ci_u32_e32 v9, vcc_lo, s6, v13, vcc_lo
	v_or_b32_e32 v6, v24, v6
	v_cmp_gt_i32_e32 vcc_lo, 1, v20
	v_or_b32_e32 v24, 0x1000, v14
	v_mul_f64 v[4:5], v[4:5], s[2:3]
	global_store_dword v[8:9], v18, off
	v_lshl_or_b32 v18, v17, 12, v14
	v_cndmask_b32_e32 v6, v23, v6, vcc_lo
	v_lshrrev_b32_e32 v23, v26, v24
	v_lshrrev_b32_e32 v15, 16, v15
	v_and_b32_e32 v12, 7, v6
	v_lshlrev_b32_e32 v13, v26, v23
	v_cmp_lt_i32_e32 vcc_lo, 5, v12
	v_cmp_eq_u32_e64 s0, 3, v12
	v_lshrrev_b32_e32 v12, 2, v6
	v_cmp_ne_u32_e64 s1, v13, v24
	v_cvt_f64_f32_e32 v[6:7], v7
	s_or_b32 vcc_lo, s0, vcc_lo
	v_add_co_ci_u32_e32 v12, vcc_lo, 0, v12, vcc_lo
	v_cmp_ne_u32_e32 vcc_lo, 0, v10
	v_cndmask_b32_e64 v13, 0, 1, s1
	v_and_or_b32 v4, 0x1ff, v5, v4
	v_bfe_u32 v19, v5, 20, 11
	v_cmp_eq_u32_e64 s1, 0x40f, v20
	v_cndmask_b32_e64 v10, 0, 1, vcc_lo
	v_add_co_u32 v8, vcc_lo, v8, s5
	v_add_co_ci_u32_e32 v9, vcc_lo, s4, v9, vcc_lo
	v_or_b32_e32 v13, v23, v13
	v_cmp_gt_i32_e32 vcc_lo, 1, v17
	v_lshl_or_b32 v10, v10, 9, 0x7c00
	v_sub_nc_u32_e32 v22, 0x3f1, v19
	v_add_nc_u32_e32 v19, 0xfffffc10, v19
	global_store_dword v[8:9], v16, off
	v_cndmask_b32_e32 v13, v18, v13, vcc_lo
	v_cmp_gt_i32_e32 vcc_lo, 31, v20
	v_lshrrev_b32_e32 v18, 8, v5
	v_mul_f64 v[6:7], v[6:7], s[2:3]
	v_med3_i32 v22, v22, 0, 13
	v_and_b32_e32 v21, 7, v13
	v_cndmask_b32_e32 v12, 0x7c00, v12, vcc_lo
	v_cmp_ne_u32_e32 vcc_lo, 0, v4
	v_cmp_eq_u32_e64 s0, 3, v21
	v_cndmask_b32_e64 v10, v12, v10, s1
	v_cndmask_b32_e64 v4, 0, 1, vcc_lo
	v_cmp_lt_i32_e32 vcc_lo, 5, v21
	v_lshrrev_b32_e32 v12, 2, v13
	v_and_or_b32 v4, 0xffe, v18, v4
	v_lshrrev_b32_e32 v18, 16, v1
	s_or_b32 vcc_lo, s0, vcc_lo
	v_add_co_ci_u32_e32 v12, vcc_lo, 0, v12, vcc_lo
	v_or_b32_e32 v21, 0x1000, v4
	v_mul_f16_sdwa v23, v56, v18 dst_sel:DWORD dst_unused:UNUSED_PAD src0_sel:WORD_1 src1_sel:DWORD
	v_cmp_ne_u32_e32 vcc_lo, 0, v14
	v_and_or_b32 v6, 0x1ff, v7, v6
	v_bfe_u32 v24, v7, 20, 11
	v_lshrrev_b32_e32 v20, v22, v21
	v_fmac_f16_e32 v23, v56, v1
	v_cndmask_b32_e64 v14, 0, 1, vcc_lo
	v_cmp_gt_i32_e32 vcc_lo, 31, v17
	v_mul_f16_sdwa v1, v56, v1 dst_sel:DWORD dst_unused:UNUSED_PAD src0_sel:WORD_1 src1_sel:DWORD
	v_lshlrev_b32_e32 v22, v22, v20
	v_cvt_f32_f16_e32 v13, v23
	v_lshl_or_b32 v14, v14, 9, 0x7c00
	v_cndmask_b32_e32 v23, 0x7c00, v12, vcc_lo
	v_fma_f16 v1, v56, v18, -v1
	v_cmp_ne_u32_e32 vcc_lo, v22, v21
	v_cvt_f64_f32_e32 v[12:13], v13
	v_lshrrev_b32_e32 v22, 8, v7
	v_lshrrev_b32_e32 v7, 16, v7
	v_cvt_f32_f16_e32 v1, v1
	v_cndmask_b32_e64 v21, 0, 1, vcc_lo
	v_cmp_ne_u32_e32 vcc_lo, 0, v6
	v_or_b32_e32 v20, v20, v21
	v_cndmask_b32_e64 v6, 0, 1, vcc_lo
	v_cmp_eq_u32_e32 vcc_lo, 0x40f, v17
	v_lshl_or_b32 v21, v19, 12, v4
	v_and_or_b32 v6, 0xffe, v22, v6
	v_sub_nc_u32_e32 v22, 0x3f1, v24
	v_cndmask_b32_e32 v14, v23, v14, vcc_lo
	v_cmp_gt_i32_e32 vcc_lo, 1, v19
	v_cndmask_b32_e32 v17, v21, v20, vcc_lo
	v_or_b32_e32 v20, 0x1000, v6
	v_med3_i32 v21, v22, 0, 13
	v_and_or_b32 v22, 0x8000, v11, v10
	v_mul_f64 v[10:11], v[12:13], s[2:3]
	v_and_or_b32 v12, 0x8000, v15, v14
	v_and_b32_e32 v13, 7, v17
	v_lshrrev_b32_e32 v14, v21, v20
	v_and_b32_e32 v15, 0xffff, v22
	v_cmp_lt_i32_e32 vcc_lo, 5, v13
	v_lshlrev_b32_e32 v16, v21, v14
	v_cmp_eq_u32_e64 s0, 3, v13
	v_lshl_or_b32 v18, v12, 16, v15
	v_lshrrev_b32_e32 v15, 2, v17
	v_cvt_f64_f32_e32 v[12:13], v1
	v_cmp_ne_u32_e64 s1, v16, v20
	s_or_b32 vcc_lo, s0, vcc_lo
	v_add_nc_u32_e32 v17, 0xfffffc10, v24
	v_add_co_ci_u32_e32 v1, vcc_lo, 0, v15, vcc_lo
	v_cndmask_b32_e64 v16, 0, 1, s1
	v_cmp_ne_u32_e32 vcc_lo, 0, v4
	v_lshl_or_b32 v15, v17, 12, v6
	v_lshrrev_b32_e32 v21, 16, v0
	v_and_or_b32 v10, 0x1ff, v11, v10
	v_or_b32_e32 v14, v14, v16
	v_cndmask_b32_e64 v4, 0, 1, vcc_lo
	v_cmp_gt_i32_e32 vcc_lo, 1, v17
	v_bfe_u32 v16, v11, 20, 11
	v_mul_f16_sdwa v22, v55, v21 dst_sel:DWORD dst_unused:UNUSED_PAD src0_sel:WORD_1 src1_sel:DWORD
	v_lshl_or_b32 v4, v4, 9, 0x7c00
	v_cndmask_b32_e32 v14, v15, v14, vcc_lo
	v_cmp_ne_u32_e32 vcc_lo, 0, v10
	v_lshrrev_b32_e32 v15, 8, v11
	v_fmac_f16_e32 v22, v55, v0
	v_mul_f64 v[12:13], v[12:13], s[2:3]
	v_and_b32_e32 v20, 7, v14
	v_cndmask_b32_e64 v10, 0, 1, vcc_lo
	v_cmp_gt_i32_e32 vcc_lo, 31, v19
	v_lshrrev_b32_e32 v14, 2, v14
	v_cvt_f32_f16_e32 v22, v22
	v_cmp_eq_u32_e64 s0, 3, v20
	v_and_or_b32 v10, 0xffe, v15, v10
	v_cndmask_b32_e32 v1, 0x7c00, v1, vcc_lo
	v_cmp_lt_i32_e32 vcc_lo, 5, v20
	v_sub_nc_u32_e32 v15, 0x3f1, v16
	v_add_nc_u32_e32 v16, 0xfffffc10, v16
	v_or_b32_e32 v23, 0x1000, v10
	v_mul_f16_sdwa v0, v55, v0 dst_sel:DWORD dst_unused:UNUSED_PAD src0_sel:WORD_1 src1_sel:DWORD
	s_or_b32 vcc_lo, s0, vcc_lo
	v_med3_i32 v15, v15, 0, 13
	v_add_co_ci_u32_e32 v24, vcc_lo, 0, v14, vcc_lo
	v_add_co_u32 v8, vcc_lo, v8, s5
	v_add_co_ci_u32_e32 v9, vcc_lo, s4, v9, vcc_lo
	v_lshrrev_b32_e32 v20, v15, v23
	v_cmp_ne_u32_e32 vcc_lo, 0, v6
	v_and_or_b32 v12, 0x1ff, v13, v12
	global_store_dword v[8:9], v18, off
	v_fma_f16 v0, v55, v21, -v0
	v_lshlrev_b32_e32 v25, v15, v20
	v_cvt_f64_f32_e32 v[14:15], v22
	v_cndmask_b32_e64 v6, 0, 1, vcc_lo
	v_cmp_eq_u32_e32 vcc_lo, 0x40f, v19
	v_lshrrev_b32_e32 v22, 16, v5
	v_lshrrev_b32_e32 v21, 16, v3
	;; [unrolled: 1-line block ×3, first 2 shown]
	v_lshl_or_b32 v6, v6, 9, 0x7c00
	v_cndmask_b32_e32 v1, v1, v4, vcc_lo
	v_cmp_gt_i32_e32 vcc_lo, 31, v17
	v_and_or_b32 v1, 0x8000, v22, v1
	v_cndmask_b32_e32 v4, 0x7c00, v24, vcc_lo
	v_cmp_ne_u32_e32 vcc_lo, v25, v23
	v_mul_f16_sdwa v22, v54, v21 dst_sel:DWORD dst_unused:UNUSED_PAD src0_sel:WORD_1 src1_sel:DWORD
	v_and_b32_e32 v1, 0xffff, v1
	v_cndmask_b32_e64 v19, 0, 1, vcc_lo
	v_cmp_eq_u32_e32 vcc_lo, 0x40f, v17
	v_fmac_f16_e32 v22, v54, v3
	v_mul_f16_sdwa v3, v54, v3 dst_sel:DWORD dst_unused:UNUSED_PAD src0_sel:WORD_1 src1_sel:DWORD
	v_or_b32_e32 v17, v20, v19
	v_cndmask_b32_e32 v4, v4, v6, vcc_lo
	v_cmp_ne_u32_e32 vcc_lo, 0, v12
	v_mul_f64 v[5:6], v[14:15], s[2:3]
	v_lshrrev_b32_e32 v19, 8, v13
	v_bfe_u32 v20, v13, 20, 11
	v_lshl_or_b32 v14, v16, 12, v10
	v_cndmask_b32_e64 v12, 0, 1, vcc_lo
	v_cmp_gt_i32_e32 vcc_lo, 1, v16
	v_and_or_b32 v4, 0x8000, v7, v4
	v_sub_nc_u32_e32 v15, 0x3f1, v20
	v_lshrrev_b32_e32 v13, 16, v13
	v_and_or_b32 v12, 0xffe, v19, v12
	v_cndmask_b32_e32 v14, v14, v17, vcc_lo
	v_lshl_or_b32 v4, v4, 16, v1
	v_med3_i32 v7, v15, 0, 13
	v_fma_f16 v3, v54, v21, -v3
	v_or_b32_e32 v17, 0x1000, v12
	v_and_b32_e32 v15, 7, v14
	v_cvt_f32_f16_e32 v3, v3
	v_lshrrev_b32_e32 v18, v7, v17
	v_cmp_lt_i32_e32 vcc_lo, 5, v15
	v_cmp_eq_u32_e64 s0, 3, v15
	v_and_or_b32 v5, 0x1ff, v6, v5
	v_bfe_u32 v19, v6, 20, 11
	v_lshlrev_b32_e32 v15, v7, v18
	v_cvt_f32_f16_e32 v7, v0
	v_add_co_u32 v0, s1, v8, s5
	v_add_co_ci_u32_e64 v1, s1, s4, v9, s1
	v_cmp_ne_u32_e64 s1, 0, v5
	v_cvt_f64_f32_e32 v[7:8], v7
	v_lshrrev_b32_e32 v9, 2, v14
	v_lshrrev_b32_e32 v14, 8, v6
	s_or_b32 vcc_lo, s0, vcc_lo
	v_cndmask_b32_e64 v5, 0, 1, s1
	v_cmp_ne_u32_e64 s1, v15, v17
	v_add_nc_u32_e32 v17, 0xfffffc10, v20
	v_add_co_ci_u32_e32 v9, vcc_lo, 0, v9, vcc_lo
	v_and_or_b32 v5, 0xffe, v14, v5
	v_cndmask_b32_e64 v15, 0, 1, s1
	v_sub_nc_u32_e32 v14, 0x3f1, v19
	v_cmp_gt_i32_e32 vcc_lo, 1, v17
	v_cmp_eq_u32_e64 s1, 0x40f, v16
	v_or_b32_e32 v20, 0x1000, v5
	v_or_b32_e32 v15, v18, v15
	v_lshl_or_b32 v18, v17, 12, v12
	v_med3_i32 v14, v14, 0, 13
	v_add_nc_u32_e32 v19, 0xfffffc10, v19
	v_cndmask_b32_e32 v15, v18, v15, vcc_lo
	v_cmp_ne_u32_e32 vcc_lo, 0, v10
	v_mul_f64 v[7:8], v[7:8], s[2:3]
	v_lshrrev_b32_e32 v18, v14, v20
	v_and_b32_e32 v23, 7, v15
	v_cndmask_b32_e64 v10, 0, 1, vcc_lo
	v_cmp_gt_i32_e32 vcc_lo, 31, v16
	v_lshlrev_b32_e32 v14, v14, v18
	v_lshrrev_b32_e32 v15, 2, v15
	v_cmp_eq_u32_e64 s0, 3, v23
	v_lshl_or_b32 v10, v10, 9, 0x7c00
	v_cndmask_b32_e32 v9, 0x7c00, v9, vcc_lo
	v_cmp_lt_i32_e32 vcc_lo, 5, v23
	v_cndmask_b32_e64 v16, v9, v10, s1
	v_cmp_ne_u32_e64 s1, v14, v20
	v_cvt_f32_f16_e32 v9, v22
	s_or_b32 vcc_lo, s0, vcc_lo
	v_add_co_ci_u32_e32 v15, vcc_lo, 0, v15, vcc_lo
	v_cndmask_b32_e64 v14, 0, 1, s1
	v_cmp_ne_u32_e32 vcc_lo, 0, v12
	v_cvt_f64_f32_e32 v[9:10], v9
	v_and_or_b32 v7, 0x1ff, v8, v7
	v_bfe_u32 v20, v8, 20, 11
	v_or_b32_e32 v14, v18, v14
	v_lshl_or_b32 v18, v19, 12, v5
	v_cndmask_b32_e64 v12, 0, 1, vcc_lo
	v_cmp_gt_i32_e32 vcc_lo, 1, v19
	v_and_or_b32 v11, 0x8000, v11, v16
	v_lshl_or_b32 v12, v12, 9, 0x7c00
	v_cndmask_b32_e32 v14, v18, v14, vcc_lo
	v_cmp_ne_u32_e32 vcc_lo, 0, v7
	v_lshrrev_b32_e32 v18, 8, v8
	v_and_b32_e32 v11, 0xffff, v11
	v_lshrrev_b32_e32 v8, 16, v8
	v_and_b32_e32 v22, 7, v14
	v_cndmask_b32_e64 v7, 0, 1, vcc_lo
	v_cmp_gt_i32_e32 vcc_lo, 31, v17
	v_cmp_eq_u32_e64 s0, 3, v22
	v_and_or_b32 v7, 0xffe, v18, v7
	v_cndmask_b32_e32 v15, 0x7c00, v15, vcc_lo
	v_cmp_eq_u32_e32 vcc_lo, 0x40f, v17
	v_sub_nc_u32_e32 v18, 0x3f1, v20
	v_mul_f64 v[9:10], v[9:10], s[2:3]
	v_cndmask_b32_e32 v12, v15, v12, vcc_lo
	v_or_b32_e32 v15, 0x1000, v7
	v_med3_i32 v17, v18, 0, 13
	v_cmp_lt_i32_e32 vcc_lo, 5, v22
	v_and_or_b32 v12, 0x8000, v13, v12
	v_lshrrev_b32_e32 v13, 2, v14
	v_lshrrev_b32_e32 v16, v17, v15
	s_or_b32 vcc_lo, s0, vcc_lo
	v_add_co_ci_u32_e32 v13, vcc_lo, 0, v13, vcc_lo
	v_lshlrev_b32_e32 v14, v17, v16
	v_cmp_ne_u32_e32 vcc_lo, 0, v5
	v_lshl_or_b32 v17, v12, 16, v11
	v_cvt_f64_f32_e32 v[11:12], v3
	v_cndmask_b32_e64 v5, 0, 1, vcc_lo
	v_cmp_ne_u32_e32 vcc_lo, v14, v15
	v_and_or_b32 v9, 0x1ff, v10, v9
	v_add_nc_u32_e32 v15, 0xfffffc10, v20
	v_lshrrev_b32_e32 v18, 8, v10
	v_bfe_u32 v20, v10, 20, 11
	v_cndmask_b32_e64 v14, 0, 1, vcc_lo
	v_cmp_gt_i32_e32 vcc_lo, 31, v19
	v_lshl_or_b32 v5, v5, 9, 0x7c00
	v_lshrrev_b32_e32 v10, 16, v10
	v_or_b32_e32 v14, v16, v14
	v_cndmask_b32_e32 v13, 0x7c00, v13, vcc_lo
	v_cmp_ne_u32_e32 vcc_lo, 0, v9
	v_lshrrev_b32_e32 v9, 16, v2
	v_lshl_or_b32 v16, v15, 12, v7
	v_cndmask_b32_e64 v3, 0, 1, vcc_lo
	v_cmp_gt_i32_e32 vcc_lo, 1, v15
	v_mul_f16_sdwa v21, v53, v9 dst_sel:DWORD dst_unused:UNUSED_PAD src0_sel:WORD_1 src1_sel:DWORD
	v_mul_f64 v[11:12], v[11:12], s[2:3]
	v_and_or_b32 v18, 0xffe, v18, v3
	v_sub_nc_u32_e32 v3, 0x3f1, v20
	v_cndmask_b32_e32 v16, v16, v14, vcc_lo
	v_fmac_f16_e32 v21, v53, v2
	v_cmp_eq_u32_e32 vcc_lo, 0x40f, v19
	v_or_b32_e32 v22, 0x1000, v18
	v_med3_i32 v3, v3, 0, 13
	v_and_b32_e32 v23, 7, v16
	v_cvt_f32_f16_e32 v14, v21
	v_cndmask_b32_e32 v19, v13, v5, vcc_lo
	v_lshrrev_b32_e32 v21, 16, v6
	v_lshrrev_b32_e32 v5, v3, v22
	v_cmp_lt_i32_e32 vcc_lo, 5, v23
	v_cmp_eq_u32_e64 s0, 3, v23
	v_cvt_f64_f32_e32 v[13:14], v14
	v_lshrrev_b32_e32 v6, 2, v16
	v_lshlrev_b32_e32 v3, v3, v5
	v_mul_f16_sdwa v2, v53, v2 dst_sel:DWORD dst_unused:UNUSED_PAD src0_sel:WORD_1 src1_sel:DWORD
	s_or_b32 vcc_lo, s0, vcc_lo
	v_and_or_b32 v19, 0x8000, v21, v19
	v_add_co_ci_u32_e32 v6, vcc_lo, 0, v6, vcc_lo
	v_cmp_ne_u32_e32 vcc_lo, v3, v22
	v_fma_f16 v2, v53, v9, -v2
	v_add_nc_u32_e32 v9, 0xfffffc10, v20
	v_and_or_b32 v11, 0x1ff, v12, v11
	v_and_b32_e32 v19, 0xffff, v19
	v_cndmask_b32_e64 v3, 0, 1, vcc_lo
	v_cmp_ne_u32_e32 vcc_lo, 0, v7
	v_cvt_f32_f16_e32 v2, v2
	v_lshl_or_b32 v20, v9, 12, v18
	v_or_b32_e32 v16, v5, v3
	v_cndmask_b32_e64 v7, 0, 1, vcc_lo
	v_cmp_gt_i32_e32 vcc_lo, 31, v15
	v_cvt_f64_f32_e32 v[2:3], v2
	v_lshl_or_b32 v7, v7, 9, 0x7c00
	v_cndmask_b32_e32 v22, 0x7c00, v6, vcc_lo
	v_mul_f64 v[5:6], v[13:14], s[2:3]
	v_add_co_u32 v13, vcc_lo, v0, s7
	v_add_co_ci_u32_e32 v14, vcc_lo, s6, v1, vcc_lo
	v_cmp_gt_i32_e32 vcc_lo, 1, v9
	v_cndmask_b32_e32 v16, v20, v16, vcc_lo
	v_cmp_eq_u32_e32 vcc_lo, 0x40f, v15
	v_lshrrev_b32_e32 v15, 8, v12
	v_bfe_u32 v20, v12, 20, 11
	v_lshrrev_b32_e32 v12, 16, v12
	v_cndmask_b32_e32 v7, v22, v7, vcc_lo
	v_cmp_ne_u32_e32 vcc_lo, 0, v11
	v_and_b32_e32 v22, 7, v16
	v_mul_f64 v[2:3], v[2:3], s[2:3]
	v_lshrrev_b32_e32 v16, 2, v16
	v_and_or_b32 v7, 0x8000, v8, v7
	v_cndmask_b32_e64 v11, 0, 1, vcc_lo
	v_cmp_lt_i32_e32 vcc_lo, 5, v22
	v_cmp_eq_u32_e64 s0, 3, v22
	v_and_or_b32 v5, 0x1ff, v6, v5
	v_lshrrev_b32_e32 v22, 8, v6
	v_and_or_b32 v11, 0xffe, v15, v11
	v_sub_nc_u32_e32 v15, 0x3f1, v20
	s_or_b32 vcc_lo, s0, vcc_lo
	v_bfe_u32 v23, v6, 20, 11
	v_add_co_ci_u32_e32 v16, vcc_lo, 0, v16, vcc_lo
	v_or_b32_e32 v8, 0x1000, v11
	v_med3_i32 v15, v15, 0, 13
	v_cmp_ne_u32_e32 vcc_lo, 0, v5
	v_lshrrev_b32_e32 v6, 16, v6
	v_lshrrev_b32_e32 v21, v15, v8
	v_cndmask_b32_e64 v5, 0, 1, vcc_lo
	v_cmp_ne_u32_e32 vcc_lo, 0, v18
	v_and_or_b32 v2, 0x1ff, v3, v2
	v_lshrrev_b32_e32 v24, 8, v3
	v_lshlrev_b32_e32 v15, v15, v21
	v_and_or_b32 v5, 0xffe, v22, v5
	v_cndmask_b32_e64 v18, 0, 1, vcc_lo
	v_sub_nc_u32_e32 v22, 0x3f1, v23
	v_bfe_u32 v25, v3, 20, 11
	v_cmp_ne_u32_e32 vcc_lo, v15, v8
	v_add_nc_u32_e32 v15, 0xfffffc10, v20
	v_or_b32_e32 v20, 0x1000, v5
	v_med3_i32 v22, v22, 0, 13
	v_lshl_or_b32 v18, v18, 9, 0x7c00
	v_cndmask_b32_e64 v8, 0, 1, vcc_lo
	v_cmp_gt_i32_e32 vcc_lo, 31, v9
	v_lshrrev_b32_e32 v26, v22, v20
	v_or_b32_e32 v8, v21, v8
	v_cndmask_b32_e32 v16, 0x7c00, v16, vcc_lo
	v_cmp_ne_u32_e32 vcc_lo, 0, v2
	v_lshl_or_b32 v21, v15, 12, v11
	v_cndmask_b32_e64 v2, 0, 1, vcc_lo
	v_cmp_gt_i32_e32 vcc_lo, 1, v15
	v_and_or_b32 v2, 0xffe, v24, v2
	v_sub_nc_u32_e32 v24, 0x3f1, v25
	v_cndmask_b32_e32 v8, v21, v8, vcc_lo
	v_lshlrev_b32_e32 v21, v22, v26
	v_cmp_eq_u32_e32 vcc_lo, 0x40f, v9
	v_or_b32_e32 v22, 0x1000, v2
	v_med3_i32 v24, v24, 0, 13
	v_and_b32_e32 v27, 7, v8
	v_lshrrev_b32_e32 v8, 2, v8
	v_cndmask_b32_e32 v9, v16, v18, vcc_lo
	v_cmp_ne_u32_e32 vcc_lo, v21, v20
	v_add_nc_u32_e32 v18, 0xfffffc10, v23
	v_lshrrev_b32_e32 v20, v24, v22
	v_cmp_eq_u32_e64 s0, 3, v27
	v_and_or_b32 v9, 0x8000, v10, v9
	v_cndmask_b32_e64 v16, 0, 1, vcc_lo
	v_lshl_or_b32 v21, v18, 12, v5
	v_lshlrev_b32_e32 v23, v24, v20
	v_cmp_gt_i32_e64 s1, 1, v18
	v_cmp_lt_i32_e32 vcc_lo, 5, v27
	v_or_b32_e32 v16, v26, v16
	s_or_b32 vcc_lo, s0, vcc_lo
	v_cndmask_b32_e64 v16, v21, v16, s1
	v_cmp_ne_u32_e64 s1, v23, v22
	v_add_nc_u32_e32 v22, 0xfffffc10, v25
	v_add_co_ci_u32_e32 v8, vcc_lo, 0, v8, vcc_lo
	v_and_b32_e32 v23, 7, v16
	v_cndmask_b32_e64 v21, 0, 1, s1
	v_cmp_ne_u32_e32 vcc_lo, 0, v11
	v_cmp_gt_i32_e64 s0, 1, v22
	v_lshrrev_b32_e32 v16, 2, v16
	v_cmp_gt_i32_e64 s1, 31, v15
	v_or_b32_e32 v20, v20, v21
	v_lshl_or_b32 v21, v22, 12, v2
	v_cndmask_b32_e64 v11, 0, 1, vcc_lo
	v_cmp_lt_i32_e32 vcc_lo, 5, v23
	v_cndmask_b32_e64 v8, 0x7c00, v8, s1
	v_cmp_eq_u32_e64 s1, 0x40f, v15
	v_cndmask_b32_e64 v10, v21, v20, s0
	v_cmp_eq_u32_e64 s0, 3, v23
	v_lshl_or_b32 v11, v11, 9, 0x7c00
	v_and_b32_e32 v20, 7, v10
	s_or_b32 vcc_lo, s0, vcc_lo
	v_lshrrev_b32_e32 v10, 2, v10
	v_add_co_ci_u32_e32 v16, vcc_lo, 0, v16, vcc_lo
	v_cmp_ne_u32_e32 vcc_lo, 0, v5
	v_cmp_eq_u32_e64 s0, 3, v20
	v_cndmask_b32_e64 v8, v8, v11, s1
	v_cmp_gt_i32_e64 s1, 31, v18
	v_cndmask_b32_e64 v5, 0, 1, vcc_lo
	v_cmp_lt_i32_e32 vcc_lo, 5, v20
	v_cndmask_b32_e64 v11, 0x7c00, v16, s1
	v_lshl_or_b32 v5, v5, 9, 0x7c00
	s_or_b32 vcc_lo, s0, vcc_lo
	v_add_co_ci_u32_e32 v10, vcc_lo, 0, v10, vcc_lo
	v_cmp_ne_u32_e32 vcc_lo, 0, v2
	v_cndmask_b32_e64 v2, 0, 1, vcc_lo
	v_cmp_eq_u32_e32 vcc_lo, 0x40f, v18
	v_lshl_or_b32 v2, v2, 9, 0x7c00
	v_cndmask_b32_e32 v5, v11, v5, vcc_lo
	v_cmp_gt_i32_e32 vcc_lo, 31, v22
	v_lshl_or_b32 v11, v7, 16, v19
	v_and_or_b32 v7, 0x8000, v12, v8
	v_and_b32_e32 v8, 0xffff, v9
	v_and_or_b32 v5, 0x8000, v6, v5
	v_cndmask_b32_e32 v10, 0x7c00, v10, vcc_lo
	v_cmp_eq_u32_e32 vcc_lo, 0x40f, v22
	v_lshrrev_b32_e32 v9, 16, v3
	v_cndmask_b32_e32 v6, v10, v2, vcc_lo
	v_add_co_u32 v2, vcc_lo, v13, s5
	v_add_co_ci_u32_e32 v3, vcc_lo, s4, v14, vcc_lo
	v_lshl_or_b32 v10, v7, 16, v8
	v_and_or_b32 v7, 0x8000, v9, v6
	v_and_b32_e32 v8, 0xffff, v5
	v_add_co_u32 v5, vcc_lo, v2, s5
	v_add_co_ci_u32_e32 v6, vcc_lo, s4, v3, vcc_lo
	v_lshl_or_b32 v9, v7, 16, v8
	v_add_co_u32 v7, vcc_lo, v5, s5
	v_add_co_ci_u32_e32 v8, vcc_lo, s4, v6, vcc_lo
	global_store_dword v[0:1], v4, off
	global_store_dword v[13:14], v17, off
	;; [unrolled: 1-line block ×5, first 2 shown]
.LBB0_2:
	s_endpgm
	.section	.rodata,"a",@progbits
	.p2align	6, 0x0
	.amdhsa_kernel bluestein_single_back_len10000_dim1_half_op_CI_CI
		.amdhsa_group_segment_fixed_size 40000
		.amdhsa_private_segment_fixed_size 0
		.amdhsa_kernarg_size 104
		.amdhsa_user_sgpr_count 6
		.amdhsa_user_sgpr_private_segment_buffer 1
		.amdhsa_user_sgpr_dispatch_ptr 0
		.amdhsa_user_sgpr_queue_ptr 0
		.amdhsa_user_sgpr_kernarg_segment_ptr 1
		.amdhsa_user_sgpr_dispatch_id 0
		.amdhsa_user_sgpr_flat_scratch_init 0
		.amdhsa_user_sgpr_private_segment_size 0
		.amdhsa_wavefront_size32 1
		.amdhsa_uses_dynamic_stack 0
		.amdhsa_system_sgpr_private_segment_wavefront_offset 0
		.amdhsa_system_sgpr_workgroup_id_x 1
		.amdhsa_system_sgpr_workgroup_id_y 0
		.amdhsa_system_sgpr_workgroup_id_z 0
		.amdhsa_system_sgpr_workgroup_info 0
		.amdhsa_system_vgpr_workitem_id 0
		.amdhsa_next_free_vgpr 160
		.amdhsa_next_free_sgpr 20
		.amdhsa_reserve_vcc 1
		.amdhsa_reserve_flat_scratch 0
		.amdhsa_float_round_mode_32 0
		.amdhsa_float_round_mode_16_64 0
		.amdhsa_float_denorm_mode_32 3
		.amdhsa_float_denorm_mode_16_64 3
		.amdhsa_dx10_clamp 1
		.amdhsa_ieee_mode 1
		.amdhsa_fp16_overflow 0
		.amdhsa_workgroup_processor_mode 1
		.amdhsa_memory_ordered 1
		.amdhsa_forward_progress 0
		.amdhsa_shared_vgpr_count 0
		.amdhsa_exception_fp_ieee_invalid_op 0
		.amdhsa_exception_fp_denorm_src 0
		.amdhsa_exception_fp_ieee_div_zero 0
		.amdhsa_exception_fp_ieee_overflow 0
		.amdhsa_exception_fp_ieee_underflow 0
		.amdhsa_exception_fp_ieee_inexact 0
		.amdhsa_exception_int_div_zero 0
	.end_amdhsa_kernel
	.text
.Lfunc_end0:
	.size	bluestein_single_back_len10000_dim1_half_op_CI_CI, .Lfunc_end0-bluestein_single_back_len10000_dim1_half_op_CI_CI
                                        ; -- End function
	.section	.AMDGPU.csdata,"",@progbits
; Kernel info:
; codeLenInByte = 38052
; NumSgprs: 22
; NumVgprs: 160
; ScratchSize: 0
; MemoryBound: 0
; FloatMode: 240
; IeeeMode: 1
; LDSByteSize: 40000 bytes/workgroup (compile time only)
; SGPRBlocks: 2
; VGPRBlocks: 19
; NumSGPRsForWavesPerEU: 22
; NumVGPRsForWavesPerEU: 160
; Occupancy: 6
; WaveLimiterHint : 1
; COMPUTE_PGM_RSRC2:SCRATCH_EN: 0
; COMPUTE_PGM_RSRC2:USER_SGPR: 6
; COMPUTE_PGM_RSRC2:TRAP_HANDLER: 0
; COMPUTE_PGM_RSRC2:TGID_X_EN: 1
; COMPUTE_PGM_RSRC2:TGID_Y_EN: 0
; COMPUTE_PGM_RSRC2:TGID_Z_EN: 0
; COMPUTE_PGM_RSRC2:TIDIG_COMP_CNT: 0
	.text
	.p2alignl 6, 3214868480
	.fill 48, 4, 3214868480
	.type	__hip_cuid_2db72a347b83126e,@object ; @__hip_cuid_2db72a347b83126e
	.section	.bss,"aw",@nobits
	.globl	__hip_cuid_2db72a347b83126e
__hip_cuid_2db72a347b83126e:
	.byte	0                               ; 0x0
	.size	__hip_cuid_2db72a347b83126e, 1

	.ident	"AMD clang version 19.0.0git (https://github.com/RadeonOpenCompute/llvm-project roc-6.4.0 25133 c7fe45cf4b819c5991fe208aaa96edf142730f1d)"
	.section	".note.GNU-stack","",@progbits
	.addrsig
	.addrsig_sym __hip_cuid_2db72a347b83126e
	.amdgpu_metadata
---
amdhsa.kernels:
  - .args:
      - .actual_access:  read_only
        .address_space:  global
        .offset:         0
        .size:           8
        .value_kind:     global_buffer
      - .actual_access:  read_only
        .address_space:  global
        .offset:         8
        .size:           8
        .value_kind:     global_buffer
      - .actual_access:  read_only
        .address_space:  global
        .offset:         16
        .size:           8
        .value_kind:     global_buffer
      - .actual_access:  read_only
        .address_space:  global
        .offset:         24
        .size:           8
        .value_kind:     global_buffer
      - .actual_access:  read_only
        .address_space:  global
        .offset:         32
        .size:           8
        .value_kind:     global_buffer
      - .offset:         40
        .size:           8
        .value_kind:     by_value
      - .address_space:  global
        .offset:         48
        .size:           8
        .value_kind:     global_buffer
      - .address_space:  global
        .offset:         56
        .size:           8
        .value_kind:     global_buffer
      - .address_space:  global
        .offset:         64
        .size:           8
        .value_kind:     global_buffer
      - .address_space:  global
        .offset:         72
        .size:           8
        .value_kind:     global_buffer
      - .offset:         80
        .size:           4
        .value_kind:     by_value
      - .address_space:  global
        .offset:         88
        .size:           8
        .value_kind:     global_buffer
      - .address_space:  global
        .offset:         96
        .size:           8
        .value_kind:     global_buffer
    .group_segment_fixed_size: 40000
    .kernarg_segment_align: 8
    .kernarg_segment_size: 104
    .language:       OpenCL C
    .language_version:
      - 2
      - 0
    .max_flat_workgroup_size: 500
    .name:           bluestein_single_back_len10000_dim1_half_op_CI_CI
    .private_segment_fixed_size: 0
    .sgpr_count:     22
    .sgpr_spill_count: 0
    .symbol:         bluestein_single_back_len10000_dim1_half_op_CI_CI.kd
    .uniform_work_group_size: 1
    .uses_dynamic_stack: false
    .vgpr_count:     160
    .vgpr_spill_count: 0
    .wavefront_size: 32
    .workgroup_processor_mode: 1
amdhsa.target:   amdgcn-amd-amdhsa--gfx1030
amdhsa.version:
  - 1
  - 2
...

	.end_amdgpu_metadata
